;; amdgpu-corpus repo=ROCm/rocFFT kind=compiled arch=gfx950 opt=O3
	.text
	.amdgcn_target "amdgcn-amd-amdhsa--gfx950"
	.amdhsa_code_object_version 6
	.protected	bluestein_single_fwd_len2400_dim1_dp_op_CI_CI ; -- Begin function bluestein_single_fwd_len2400_dim1_dp_op_CI_CI
	.globl	bluestein_single_fwd_len2400_dim1_dp_op_CI_CI
	.p2align	8
	.type	bluestein_single_fwd_len2400_dim1_dp_op_CI_CI,@function
bluestein_single_fwd_len2400_dim1_dp_op_CI_CI: ; @bluestein_single_fwd_len2400_dim1_dp_op_CI_CI
; %bb.0:
	s_load_dwordx4 s[8:11], s[0:1], 0x28
	v_mul_u32_u24_e32 v1, 0x112, v0
	v_mov_b32_e32 v197, 0
	v_add_u32_sdwa v198, s2, v1 dst_sel:DWORD dst_unused:UNUSED_PAD src0_sel:DWORD src1_sel:WORD_1
	v_mov_b32_e32 v199, v197
	s_waitcnt lgkmcnt(0)
	v_cmp_gt_u64_e32 vcc, s[8:9], v[198:199]
	s_and_saveexec_b64 s[2:3], vcc
	s_cbranch_execz .LBB0_23
; %bb.1:
	s_load_dwordx4 s[4:7], s[0:1], 0x18
	s_load_dwordx2 s[14:15], s[0:1], 0x0
	v_mov_b32_e32 v2, s10
	v_mov_b32_e32 v3, s11
	s_movk_i32 s2, 0xf0
	s_waitcnt lgkmcnt(0)
	s_load_dwordx4 s[8:11], s[4:5], 0x0
	v_mul_lo_u16_sdwa v1, v1, s2 dst_sel:DWORD dst_unused:UNUSED_PAD src0_sel:WORD_1 src1_sel:DWORD
	v_sub_u16_e32 v196, v0, v1
	v_lshlrev_b32_e32 v192, 4, v196
	v_mov_b32_e32 v193, v197
	s_waitcnt lgkmcnt(0)
	v_mad_u64_u32 v[0:1], s[2:3], s10, v198, 0
	v_mov_b32_e32 v4, v1
	v_mad_u64_u32 v[4:5], s[2:3], s11, v198, v[4:5]
	v_mov_b32_e32 v1, v4
	v_mad_u64_u32 v[4:5], s[2:3], s8, v196, 0
	v_mov_b32_e32 v6, v5
	v_mad_u64_u32 v[6:7], s[2:3], s9, v196, v[6:7]
	s_mul_i32 s2, s9, 0x258
	s_mul_hi_u32 s3, s8, 0x258
	v_mov_b32_e32 v5, v6
	v_lshl_add_u64 v[0:1], v[0:1], 4, v[2:3]
	s_add_i32 s3, s3, s2
	s_mul_i32 s2, s8, 0x258
	v_lshl_add_u64 v[4:5], v[4:5], 4, v[0:1]
	v_lshl_add_u64 v[194:195], s[14:15], 0, v[192:193]
	s_lshl_b64 s[2:3], s[2:3], 4
	s_movk_i32 s4, 0x2000
	global_load_dwordx4 v[0:3], v192, s[14:15]
	v_lshl_add_u64 v[8:9], v[4:5], 0, s[2:3]
	global_load_dwordx4 v[36:39], v[4:5], off
	global_load_dwordx4 v[40:43], v[8:9], off
	v_add_co_u32_e32 v4, vcc, s4, v194
	s_movk_i32 s4, 0x4000
	s_nop 0
	v_addc_co_u32_e32 v5, vcc, 0, v195, vcc
	v_add_co_u32_e32 v32, vcc, s4, v194
	s_movk_i32 s4, 0x7000
	s_nop 0
	v_addc_co_u32_e32 v33, vcc, 0, v195, vcc
	global_load_dwordx4 v[4:7], v[4:5], off offset:1408
	v_lshl_add_u64 v[12:13], v[8:9], 0, s[2:3]
	v_add_co_u32_e32 v68, vcc, s4, v194
	s_mul_hi_u32 s5, s8, 0xfffff9e8
	v_lshl_add_u64 v[16:17], v[12:13], 0, s[2:3]
	v_addc_co_u32_e32 v69, vcc, 0, v195, vcc
	s_mul_i32 s4, s9, 0xfffff9e8
	s_sub_i32 s5, s5, s8
	global_load_dwordx4 v[44:47], v[12:13], off
	global_load_dwordx4 v[48:51], v[16:17], off
	global_load_dwordx4 v[8:11], v[32:33], off offset:2816
	s_add_i32 s17, s5, s4
	global_load_dwordx4 v[12:15], v[68:69], off offset:128
	s_mul_i32 s16, s8, 0xfffff9e8
	v_lshl_add_u64 v[20:21], s[16:17], 4, v[16:17]
	s_movk_i32 s4, 0x3000
	global_load_dwordx4 v[52:55], v[20:21], off
	global_load_dwordx4 v[16:19], v192, s[14:15] offset:3840
	v_lshl_add_u64 v[24:25], v[20:21], 0, s[2:3]
	v_add_co_u32_e32 v20, vcc, s4, v194
	s_movk_i32 s4, 0x5000
	s_nop 0
	v_addc_co_u32_e32 v21, vcc, 0, v195, vcc
	global_load_dwordx4 v[56:59], v[24:25], off
	v_lshl_add_u64 v[28:29], v[24:25], 0, s[2:3]
	global_load_dwordx4 v[20:23], v[20:21], off offset:1152
	v_add_co_u32_e32 v24, vcc, s4, v194
	global_load_dwordx4 v[60:63], v[28:29], off
	s_nop 0
	v_addc_co_u32_e32 v25, vcc, 0, v195, vcc
	global_load_dwordx4 v[24:27], v[24:25], off offset:2560
	v_lshl_add_u64 v[34:35], v[28:29], 0, s[2:3]
	global_load_dwordx4 v[28:31], v[68:69], off offset:3968
	global_load_dwordx4 v[64:67], v[34:35], off
	s_load_dwordx2 s[12:13], s[0:1], 0x38
	s_load_dwordx4 s[8:11], s[6:7], 0x0
	s_movk_i32 s4, 0x78
	v_cmp_gt_u16_e64 s[4:5], s4, v196
	s_waitcnt vmcnt(14)
	v_mul_f64 v[68:69], v[38:39], v[2:3]
	v_mul_f64 v[70:71], v[36:37], v[2:3]
	v_fmac_f64_e32 v[68:69], v[36:37], v[0:1]
	v_fma_f64 v[70:71], v[38:39], v[0:1], -v[70:71]
	ds_write_b128 v192, v[68:71]
	s_waitcnt vmcnt(12)
	v_mul_f64 v[36:37], v[42:43], v[6:7]
	v_mul_f64 v[38:39], v[40:41], v[6:7]
	v_fmac_f64_e32 v[36:37], v[40:41], v[4:5]
	v_fma_f64 v[38:39], v[42:43], v[4:5], -v[38:39]
	ds_write_b128 v192, v[36:39] offset:9600
	s_waitcnt vmcnt(9)
	v_mul_f64 v[40:41], v[46:47], v[10:11]
	v_mul_f64 v[42:43], v[44:45], v[10:11]
	s_waitcnt vmcnt(8)
	v_mul_f64 v[36:37], v[50:51], v[14:15]
	v_mul_f64 v[38:39], v[48:49], v[14:15]
	v_fmac_f64_e32 v[36:37], v[48:49], v[12:13]
	v_fma_f64 v[38:39], v[50:51], v[12:13], -v[38:39]
	ds_write_b128 v192, v[36:39] offset:28800
	s_waitcnt vmcnt(6)
	v_mul_f64 v[36:37], v[54:55], v[18:19]
	v_mul_f64 v[38:39], v[52:53], v[18:19]
	v_fmac_f64_e32 v[36:37], v[52:53], v[16:17]
	v_fma_f64 v[38:39], v[54:55], v[16:17], -v[38:39]
	ds_write_b128 v192, v[36:39] offset:3840
	v_fmac_f64_e32 v[40:41], v[44:45], v[8:9]
	v_fma_f64 v[42:43], v[46:47], v[8:9], -v[42:43]
	ds_write_b128 v192, v[40:43] offset:19200
	s_waitcnt vmcnt(4)
	v_mul_f64 v[36:37], v[58:59], v[22:23]
	v_mul_f64 v[38:39], v[56:57], v[22:23]
	v_fmac_f64_e32 v[36:37], v[56:57], v[20:21]
	v_fma_f64 v[38:39], v[58:59], v[20:21], -v[38:39]
	ds_write_b128 v192, v[36:39] offset:13440
	s_waitcnt vmcnt(2)
	v_mul_f64 v[36:37], v[62:63], v[26:27]
	v_mul_f64 v[38:39], v[60:61], v[26:27]
	v_fmac_f64_e32 v[36:37], v[60:61], v[24:25]
	v_fma_f64 v[38:39], v[62:63], v[24:25], -v[38:39]
	ds_write_b128 v192, v[36:39] offset:23040
	s_waitcnt vmcnt(0)
	v_mul_f64 v[36:37], v[66:67], v[30:31]
	v_mul_f64 v[38:39], v[64:65], v[30:31]
	v_fmac_f64_e32 v[36:37], v[64:65], v[28:29]
	v_fma_f64 v[38:39], v[66:67], v[28:29], -v[38:39]
	ds_write_b128 v192, v[36:39] offset:32640
	s_and_saveexec_b64 s[6:7], s[4:5]
	s_cbranch_execz .LBB0_3
; %bb.2:
	v_lshl_add_u64 v[42:43], s[16:17], 4, v[34:35]
	v_add_co_u32_e32 v38, vcc, 0x1000, v194
	v_lshl_add_u64 v[50:51], v[42:43], 0, s[2:3]
	s_nop 0
	v_addc_co_u32_e32 v39, vcc, 0, v195, vcc
	s_movk_i32 s16, 0x6000
	global_load_dwordx4 v[34:37], v[42:43], off
	v_add_co_u32_e32 v54, vcc, s16, v194
	global_load_dwordx4 v[38:41], v[38:39], off offset:3584
	s_nop 0
	global_load_dwordx4 v[42:45], v[50:51], off
	global_load_dwordx4 v[46:49], v[32:33], off offset:896
	v_lshl_add_u64 v[32:33], v[50:51], 0, s[2:3]
	global_load_dwordx4 v[50:53], v[32:33], off
	v_addc_co_u32_e32 v55, vcc, 0, v195, vcc
	v_lshl_add_u64 v[32:33], v[32:33], 0, s[2:3]
	s_mov_b32 s2, 0x8000
	v_add_co_u32_e32 v66, vcc, s2, v194
	global_load_dwordx4 v[54:57], v[54:55], off offset:2304
	s_nop 0
	v_addc_co_u32_e32 v67, vcc, 0, v195, vcc
	global_load_dwordx4 v[58:61], v[66:67], off offset:3712
	global_load_dwordx4 v[62:65], v[32:33], off
	s_waitcnt vmcnt(6)
	v_mul_f64 v[32:33], v[36:37], v[40:41]
	v_mul_f64 v[66:67], v[34:35], v[40:41]
	s_waitcnt vmcnt(4)
	v_mul_f64 v[40:41], v[44:45], v[48:49]
	v_mul_f64 v[48:49], v[42:43], v[48:49]
	v_fmac_f64_e32 v[32:33], v[34:35], v[38:39]
	v_fma_f64 v[34:35], v[36:37], v[38:39], -v[66:67]
	v_fmac_f64_e32 v[40:41], v[42:43], v[46:47]
	v_fma_f64 v[42:43], v[44:45], v[46:47], -v[48:49]
	ds_write_b128 v192, v[32:35] offset:7680
	ds_write_b128 v192, v[40:43] offset:17280
	s_waitcnt vmcnt(2)
	v_mul_f64 v[36:37], v[52:53], v[56:57]
	v_mul_f64 v[38:39], v[50:51], v[56:57]
	v_fmac_f64_e32 v[36:37], v[50:51], v[54:55]
	s_waitcnt vmcnt(0)
	v_mul_f64 v[32:33], v[64:65], v[60:61]
	v_mul_f64 v[34:35], v[62:63], v[60:61]
	v_fma_f64 v[38:39], v[52:53], v[54:55], -v[38:39]
	v_fmac_f64_e32 v[32:33], v[62:63], v[58:59]
	v_fma_f64 v[34:35], v[64:65], v[58:59], -v[34:35]
	ds_write_b128 v192, v[36:39] offset:26880
	ds_write_b128 v192, v[32:35] offset:36480
.LBB0_3:
	s_or_b64 exec, exec, s[6:7]
	s_waitcnt lgkmcnt(0)
	s_barrier
	ds_read_b128 v[64:67], v192
	ds_read_b128 v[44:47], v192 offset:3840
	ds_read_b128 v[68:71], v192 offset:9600
	;; [unrolled: 1-line block ×7, first 2 shown]
	s_load_dwordx2 s[0:1], s[0:1], 0x8
                                        ; implicit-def: $vgpr40_vgpr41
                                        ; implicit-def: $vgpr60_vgpr61
                                        ; implicit-def: $vgpr52_vgpr53
                                        ; implicit-def: $vgpr32_vgpr33
	s_and_saveexec_b64 s[2:3], s[4:5]
	s_cbranch_execz .LBB0_5
; %bb.4:
	ds_read_b128 v[32:35], v192 offset:17280
	ds_read_b128 v[52:55], v192 offset:26880
	;; [unrolled: 1-line block ×4, first 2 shown]
.LBB0_5:
	s_or_b64 exec, exec, s[2:3]
	s_waitcnt lgkmcnt(0)
	v_add_f64 v[78:79], v[66:67], -v[78:79]
	v_add_f64 v[84:85], v[68:69], -v[72:73]
	;; [unrolled: 1-line block ×4, first 2 shown]
	v_fma_f64 v[82:83], v[66:67], 2.0, -v[78:79]
	v_fma_f64 v[66:67], v[70:71], 2.0, -v[72:73]
	v_fma_f64 v[80:81], v[64:65], 2.0, -v[76:77]
	v_fma_f64 v[64:65], v[68:69], 2.0, -v[84:85]
	v_add_f64 v[66:67], v[82:83], -v[66:67]
	v_add_f64 v[64:65], v[80:81], -v[64:65]
	v_fma_f64 v[70:71], v[82:83], 2.0, -v[66:67]
	v_add_f64 v[74:75], v[78:79], v[84:85]
	v_add_f64 v[84:85], v[44:45], -v[56:57]
	v_add_f64 v[82:83], v[36:37], -v[48:49]
	v_fma_f64 v[68:69], v[80:81], 2.0, -v[64:65]
	v_add_f64 v[86:87], v[46:47], -v[58:59]
	v_fma_f64 v[44:45], v[44:45], 2.0, -v[84:85]
	;; [unrolled: 2-line block ×3, first 2 shown]
	v_fma_f64 v[46:47], v[46:47], 2.0, -v[86:87]
	v_fma_f64 v[38:39], v[38:39], 2.0, -v[80:81]
	v_add_f64 v[48:49], v[44:45], -v[36:37]
	v_add_f64 v[50:51], v[46:47], -v[38:39]
	v_fma_f64 v[56:57], v[44:45], 2.0, -v[48:49]
	v_add_f64 v[44:45], v[40:41], -v[52:53]
	s_mov_b64 s[2:3], 0xf0
	v_fma_f64 v[58:59], v[46:47], 2.0, -v[50:51]
	v_add_f64 v[46:47], v[42:43], -v[54:55]
	v_fma_f64 v[36:37], v[40:41], 2.0, -v[44:45]
	v_add_f64 v[40:41], v[32:33], -v[60:61]
	v_lshl_add_u64 v[108:109], v[196:197], 0, s[2:3]
	s_mov_b64 s[2:3], 0x1e0
	v_fma_f64 v[38:39], v[42:43], 2.0, -v[46:47]
	v_add_f64 v[42:43], v[34:35], -v[62:63]
	v_fma_f64 v[32:33], v[32:33], 2.0, -v[40:41]
	v_lshl_add_u64 v[88:89], v[196:197], 0, s[2:3]
	v_fma_f64 v[34:35], v[34:35], 2.0, -v[42:43]
	v_add_f64 v[144:145], v[36:37], -v[32:33]
	v_lshlrev_b16_e32 v32, 2, v196
	v_add_f64 v[72:73], v[76:77], -v[72:73]
	v_add_f64 v[80:81], v[84:85], -v[80:81]
	v_add_f64 v[82:83], v[86:87], v[82:83]
	v_add_f64 v[146:147], v[38:39], -v[34:35]
	v_add_f64 v[148:149], v[44:45], -v[42:43]
	v_add_f64 v[150:151], v[46:47], v[40:41]
	v_lshlrev_b32_e32 v197, 4, v32
	v_lshlrev_b32_e32 v199, 6, v108
	;; [unrolled: 1-line block ×3, first 2 shown]
	v_fma_f64 v[76:77], v[76:77], 2.0, -v[72:73]
	v_fma_f64 v[78:79], v[78:79], 2.0, -v[74:75]
	v_fma_f64 v[84:85], v[84:85], 2.0, -v[80:81]
	v_fma_f64 v[86:87], v[86:87], 2.0, -v[82:83]
	s_barrier
	ds_write_b128 v197, v[68:71]
	ds_write_b128 v197, v[76:79] offset:16
	ds_write_b128 v197, v[64:67] offset:32
	;; [unrolled: 1-line block ×3, first 2 shown]
	ds_write_b128 v199, v[56:59]
	ds_write_b128 v199, v[84:87] offset:16
	ds_write_b128 v199, v[48:51] offset:32
	;; [unrolled: 1-line block ×3, first 2 shown]
	s_and_saveexec_b64 s[2:3], s[4:5]
	s_cbranch_execz .LBB0_7
; %bb.6:
	v_fma_f64 v[38:39], v[38:39], 2.0, -v[146:147]
	v_fma_f64 v[36:37], v[36:37], 2.0, -v[144:145]
	;; [unrolled: 1-line block ×4, first 2 shown]
	ds_write_b128 v193, v[36:39]
	ds_write_b128 v193, v[32:35] offset:16
	ds_write_b128 v193, v[144:147] offset:32
	;; [unrolled: 1-line block ×3, first 2 shown]
.LBB0_7:
	s_or_b64 exec, exec, s[2:3]
	v_and_b32_e32 v109, 3, v196
	s_movk_i32 s24, 0x90
	v_mov_b64_e32 v[72:73], s[0:1]
	v_mad_u64_u32 v[68:69], s[2:3], v109, s24, v[72:73]
	s_waitcnt lgkmcnt(0)
	s_barrier
	global_load_dwordx4 v[44:47], v[68:69], off
	global_load_dwordx4 v[40:43], v[68:69], off offset:16
	global_load_dwordx4 v[36:39], v[68:69], off offset:32
	;; [unrolled: 1-line block ×8, first 2 shown]
	ds_read_b128 v[74:77], v192 offset:3840
	ds_read_b128 v[78:81], v192 offset:7680
	;; [unrolled: 1-line block ×8, first 2 shown]
	ds_read_b128 v[68:71], v192
	ds_read_b128 v[110:113], v192 offset:34560
	s_mov_b32 s2, 0x134454ff
	s_mov_b32 s3, 0x3fee6f0e
	;; [unrolled: 1-line block ×12, first 2 shown]
	s_movk_i32 s25, 0xcd
	s_waitcnt lgkmcnt(0)
	s_barrier
	s_waitcnt vmcnt(8)
	v_mul_f64 v[106:107], v[76:77], v[46:47]
	s_waitcnt vmcnt(7)
	v_mul_f64 v[116:117], v[80:81], v[42:43]
	v_mul_f64 v[114:115], v[74:75], v[46:47]
	;; [unrolled: 1-line block ×3, first 2 shown]
	s_waitcnt vmcnt(6)
	v_mul_f64 v[120:121], v[84:85], v[38:39]
	s_waitcnt vmcnt(5)
	v_mul_f64 v[124:125], v[88:89], v[34:35]
	;; [unrolled: 2-line block ×4, first 2 shown]
	v_fma_f64 v[106:107], v[74:75], v[44:45], -v[106:107]
	v_fma_f64 v[74:75], v[78:79], v[40:41], -v[116:117]
	v_mul_f64 v[122:123], v[82:83], v[38:39]
	v_mul_f64 v[130:131], v[90:91], v[62:63]
	s_waitcnt vmcnt(1)
	v_mul_f64 v[140:141], v[104:105], v[50:51]
	v_mul_f64 v[142:143], v[102:103], v[50:51]
	v_fmac_f64_e32 v[114:115], v[76:77], v[44:45]
	v_fmac_f64_e32 v[118:119], v[80:81], v[40:41]
	v_fma_f64 v[76:77], v[82:83], v[36:37], -v[120:121]
	v_fma_f64 v[78:79], v[86:87], v[32:33], -v[124:125]
	;; [unrolled: 1-line block ×4, first 2 shown]
	v_add_f64 v[90:91], v[68:69], v[74:75]
	v_mul_f64 v[126:127], v[86:87], v[34:35]
	v_mul_f64 v[134:135], v[94:95], v[58:59]
	;; [unrolled: 1-line block ×4, first 2 shown]
	v_fmac_f64_e32 v[130:131], v[92:93], v[60:61]
	v_fma_f64 v[86:87], v[102:103], v[48:49], -v[140:141]
	v_fmac_f64_e32 v[142:143], v[104:105], v[48:49]
	v_add_f64 v[92:93], v[78:79], v[82:83]
	v_add_f64 v[90:91], v[90:91], v[78:79]
	v_fmac_f64_e32 v[122:123], v[84:85], v[36:37]
	v_fmac_f64_e32 v[126:127], v[88:89], v[32:33]
	;; [unrolled: 1-line block ×3, first 2 shown]
	v_fma_f64 v[84:85], v[98:99], v[52:53], -v[136:137]
	v_fmac_f64_e32 v[138:139], v[100:101], v[52:53]
	v_add_f64 v[94:95], v[118:119], -v[142:143]
	v_add_f64 v[98:99], v[74:75], -v[78:79]
	;; [unrolled: 1-line block ×3, first 2 shown]
	v_fma_f64 v[104:105], -0.5, v[92:93], v[68:69]
	v_add_f64 v[90:91], v[90:91], v[82:83]
	v_add_f64 v[96:97], v[126:127], -v[134:135]
	v_add_f64 v[92:93], v[98:99], v[100:101]
	v_fma_f64 v[98:99], s[2:3], v[94:95], v[104:105]
	v_fmac_f64_e32 v[104:105], s[18:19], v[94:95]
	v_add_f64 v[100:101], v[90:91], v[86:87]
	v_add_f64 v[90:91], v[74:75], v[86:87]
	v_fmac_f64_e32 v[98:99], s[6:7], v[96:97]
	v_fmac_f64_e32 v[104:105], s[20:21], v[96:97]
	v_fmac_f64_e32 v[68:69], -0.5, v[90:91]
	v_fmac_f64_e32 v[98:99], s[16:17], v[92:93]
	v_fmac_f64_e32 v[104:105], s[16:17], v[92:93]
	v_fma_f64 v[102:103], s[18:19], v[96:97], v[68:69]
	v_add_f64 v[90:91], v[78:79], -v[74:75]
	v_add_f64 v[92:93], v[82:83], -v[86:87]
	v_fmac_f64_e32 v[68:69], s[2:3], v[96:97]
	v_fmac_f64_e32 v[102:103], s[6:7], v[94:95]
	v_add_f64 v[90:91], v[90:91], v[92:93]
	v_fmac_f64_e32 v[68:69], s[20:21], v[94:95]
	v_fmac_f64_e32 v[102:103], s[16:17], v[90:91]
	;; [unrolled: 1-line block ×3, first 2 shown]
	v_add_f64 v[90:91], v[70:71], v[118:119]
	v_add_f64 v[90:91], v[90:91], v[126:127]
	v_add_f64 v[90:91], v[90:91], v[134:135]
	s_waitcnt vmcnt(0)
	v_mul_f64 v[154:155], v[110:111], v[66:67]
	v_add_f64 v[96:97], v[90:91], v[142:143]
	v_add_f64 v[90:91], v[126:127], v[134:135]
	v_mul_f64 v[152:153], v[112:113], v[66:67]
	v_fmac_f64_e32 v[154:155], v[112:113], v[64:65]
	v_fma_f64 v[112:113], -0.5, v[90:91], v[70:71]
	v_add_f64 v[74:75], v[74:75], -v[86:87]
	v_fma_f64 v[116:117], s[18:19], v[74:75], v[112:113]
	v_add_f64 v[78:79], v[78:79], -v[82:83]
	v_add_f64 v[82:83], v[118:119], -v[126:127]
	;; [unrolled: 1-line block ×3, first 2 shown]
	v_fmac_f64_e32 v[112:113], s[2:3], v[74:75]
	v_fmac_f64_e32 v[116:117], s[20:21], v[78:79]
	v_add_f64 v[82:83], v[82:83], v[86:87]
	v_fmac_f64_e32 v[112:113], s[6:7], v[78:79]
	v_fmac_f64_e32 v[116:117], s[16:17], v[82:83]
	;; [unrolled: 1-line block ×3, first 2 shown]
	v_add_f64 v[82:83], v[118:119], v[142:143]
	v_fmac_f64_e32 v[70:71], -0.5, v[82:83]
	v_fma_f64 v[120:121], s[2:3], v[78:79], v[70:71]
	v_fmac_f64_e32 v[70:71], s[18:19], v[78:79]
	v_fmac_f64_e32 v[120:121], s[20:21], v[74:75]
	v_fmac_f64_e32 v[70:71], s[6:7], v[74:75]
	v_add_f64 v[74:75], v[106:107], v[76:77]
	v_add_f64 v[74:75], v[74:75], v[80:81]
	v_fma_f64 v[88:89], v[110:111], v[64:65], -v[152:153]
	v_add_f64 v[74:75], v[74:75], v[84:85]
	v_add_f64 v[82:83], v[126:127], -v[118:119]
	v_add_f64 v[86:87], v[134:135], -v[142:143]
	v_add_f64 v[94:95], v[74:75], v[88:89]
	v_add_f64 v[74:75], v[80:81], v[84:85]
	;; [unrolled: 1-line block ×3, first 2 shown]
	v_fma_f64 v[92:93], -0.5, v[74:75], v[106:107]
	v_add_f64 v[74:75], v[122:123], -v[154:155]
	v_fmac_f64_e32 v[120:121], s[16:17], v[82:83]
	v_fmac_f64_e32 v[70:71], s[16:17], v[82:83]
	v_fma_f64 v[110:111], s[2:3], v[74:75], v[92:93]
	v_add_f64 v[78:79], v[130:131], -v[138:139]
	v_add_f64 v[82:83], v[76:77], -v[80:81]
	;; [unrolled: 1-line block ×3, first 2 shown]
	v_fmac_f64_e32 v[92:93], s[18:19], v[74:75]
	v_fmac_f64_e32 v[110:111], s[6:7], v[78:79]
	v_add_f64 v[82:83], v[82:83], v[86:87]
	v_fmac_f64_e32 v[92:93], s[20:21], v[78:79]
	v_fmac_f64_e32 v[110:111], s[16:17], v[82:83]
	;; [unrolled: 1-line block ×3, first 2 shown]
	v_add_f64 v[82:83], v[76:77], v[88:89]
	v_fmac_f64_e32 v[106:107], -0.5, v[82:83]
	v_fma_f64 v[118:119], s[18:19], v[78:79], v[106:107]
	v_fmac_f64_e32 v[106:107], s[2:3], v[78:79]
	v_fmac_f64_e32 v[118:119], s[6:7], v[74:75]
	;; [unrolled: 1-line block ×3, first 2 shown]
	v_add_f64 v[74:75], v[114:115], v[122:123]
	v_add_f64 v[74:75], v[74:75], v[130:131]
	;; [unrolled: 1-line block ×5, first 2 shown]
	v_fma_f64 v[126:127], -0.5, v[74:75], v[114:115]
	v_add_f64 v[74:75], v[76:77], -v[88:89]
	v_add_f64 v[82:83], v[80:81], -v[76:77]
	;; [unrolled: 1-line block ×3, first 2 shown]
	v_fma_f64 v[88:89], s[18:19], v[74:75], v[126:127]
	v_add_f64 v[76:77], v[80:81], -v[84:85]
	v_add_f64 v[78:79], v[122:123], -v[130:131]
	;; [unrolled: 1-line block ×3, first 2 shown]
	v_fmac_f64_e32 v[126:127], s[2:3], v[74:75]
	v_fmac_f64_e32 v[88:89], s[20:21], v[76:77]
	v_add_f64 v[78:79], v[78:79], v[80:81]
	v_fmac_f64_e32 v[126:127], s[6:7], v[76:77]
	v_fmac_f64_e32 v[88:89], s[16:17], v[78:79]
	;; [unrolled: 1-line block ×3, first 2 shown]
	v_add_f64 v[78:79], v[122:123], v[154:155]
	v_fmac_f64_e32 v[114:115], -0.5, v[78:79]
	v_fma_f64 v[84:85], s[2:3], v[76:77], v[114:115]
	v_add_f64 v[78:79], v[130:131], -v[122:123]
	v_add_f64 v[80:81], v[138:139], -v[154:155]
	v_fmac_f64_e32 v[114:115], s[18:19], v[76:77]
	v_add_f64 v[78:79], v[78:79], v[80:81]
	v_fmac_f64_e32 v[114:115], s[6:7], v[74:75]
	v_add_f64 v[82:83], v[82:83], v[86:87]
	v_fmac_f64_e32 v[114:115], s[16:17], v[78:79]
	v_mul_f64 v[134:135], v[110:111], s[20:21]
	v_fmac_f64_e32 v[106:107], s[16:17], v[82:83]
	v_mul_f64 v[122:123], v[88:89], s[6:7]
	;; [unrolled: 2-line block ×4, first 2 shown]
	v_fma_f64 v[106:107], v[106:107], s[18:19], -v[88:89]
	v_fmac_f64_e32 v[84:85], s[16:17], v[78:79]
	v_add_f64 v[88:89], v[70:71], v[106:107]
	v_add_f64 v[70:71], v[70:71], -v[106:107]
	v_lshrrev_b32_e32 v106, 2, v196
	v_fmac_f64_e32 v[118:119], s[16:17], v[82:83]
	v_mul_f64 v[128:129], v[84:85], s[2:3]
	v_mul_u32_u24_e32 v106, 40, v106
	v_fmac_f64_e32 v[122:123], s[22:23], v[110:111]
	v_fmac_f64_e32 v[128:129], s[16:17], v[118:119]
	v_fma_f64 v[130:131], v[114:115], s[2:3], -v[76:77]
	v_mul_f64 v[76:77], v[92:93], s[22:23]
	v_mul_f64 v[118:119], v[118:119], s[18:19]
	;; [unrolled: 1-line block ×3, first 2 shown]
	v_or_b32_e32 v106, v106, v109
	v_add_f64 v[74:75], v[100:101], v[94:95]
	v_add_f64 v[86:87], v[68:69], v[130:131]
	v_fma_f64 v[132:133], v[126:127], s[6:7], -v[76:77]
	v_add_f64 v[76:77], v[96:97], v[124:125]
	v_fmac_f64_e32 v[118:119], s[16:17], v[84:85]
	v_fma_f64 v[114:115], v[92:93], s[20:21], -v[110:111]
	v_add_f64 v[68:69], v[68:69], -v[130:131]
	v_lshlrev_b32_e32 v200, 4, v106
	v_add_f64 v[78:79], v[98:99], v[122:123]
	v_add_f64 v[82:83], v[102:103], v[128:129]
	;; [unrolled: 1-line block ×6, first 2 shown]
	v_add_f64 v[94:95], v[100:101], -v[94:95]
	v_add_f64 v[98:99], v[98:99], -v[122:123]
	v_add_f64 v[102:103], v[102:103], -v[128:129]
	v_add_f64 v[110:111], v[104:105], -v[132:133]
	v_add_f64 v[96:97], v[96:97], -v[124:125]
	v_add_f64 v[100:101], v[116:117], -v[134:135]
	v_add_f64 v[104:105], v[120:121], -v[118:119]
	v_add_f64 v[112:113], v[112:113], -v[114:115]
	ds_write_b128 v200, v[74:77]
	ds_write_b128 v200, v[78:81] offset:64
	ds_write_b128 v200, v[82:85] offset:128
	;; [unrolled: 1-line block ×9, first 2 shown]
	v_mul_lo_u16_sdwa v68, v196, s25 dst_sel:DWORD dst_unused:UNUSED_PAD src0_sel:BYTE_0 src1_sel:DWORD
	v_lshrrev_b16_e32 v109, 13, v68
	v_mul_lo_u16_e32 v68, 40, v109
	v_sub_u16_e32 v68, v196, v68
	v_and_b32_e32 v160, 0xff, v68
	v_mad_u64_u32 v[104:105], s[24:25], v160, s24, v[72:73]
	s_waitcnt lgkmcnt(0)
	s_barrier
	global_load_dwordx4 v[80:83], v[104:105], off offset:576
	global_load_dwordx4 v[76:79], v[104:105], off offset:592
	;; [unrolled: 1-line block ×9, first 2 shown]
	ds_read_b128 v[110:113], v192 offset:3840
	ds_read_b128 v[114:117], v192 offset:7680
	;; [unrolled: 1-line block ×8, first 2 shown]
	ds_read_b128 v[104:107], v192
	ds_read_b128 v[166:169], v192 offset:34560
	v_mul_u32_u24_e32 v109, 0x190, v109
	v_add_lshl_u32 v201, v109, v160, 4
	s_waitcnt lgkmcnt(0)
	s_barrier
	s_waitcnt vmcnt(8)
	v_mul_f64 v[122:123], v[112:113], v[82:83]
	v_fma_f64 v[170:171], v[110:111], v[80:81], -v[122:123]
	v_mul_f64 v[172:173], v[110:111], v[82:83]
	s_waitcnt vmcnt(7)
	v_mul_f64 v[110:111], v[116:117], v[78:79]
	v_fmac_f64_e32 v[172:173], v[112:113], v[80:81]
	v_fma_f64 v[130:131], v[114:115], v[76:77], -v[110:111]
	v_mul_f64 v[122:123], v[114:115], v[78:79]
	s_waitcnt vmcnt(6)
	v_mul_f64 v[110:111], v[120:121], v[74:75]
	s_waitcnt vmcnt(5)
	v_mul_f64 v[112:113], v[126:127], v[70:71]
	v_fmac_f64_e32 v[122:123], v[116:117], v[76:77]
	v_fma_f64 v[116:117], v[118:119], v[72:73], -v[110:111]
	v_mul_f64 v[110:111], v[118:119], v[74:75]
	v_fma_f64 v[138:139], v[124:125], v[68:69], -v[112:113]
	s_waitcnt vmcnt(4)
	v_mul_f64 v[112:113], v[134:135], v[98:99]
	v_fmac_f64_e32 v[110:111], v[120:121], v[72:73]
	v_fma_f64 v[120:121], v[132:133], v[96:97], -v[112:113]
	s_waitcnt vmcnt(3)
	v_mul_f64 v[112:113], v[154:155], v[94:95]
	v_fma_f64 v[142:143], v[152:153], v[92:93], -v[112:113]
	s_waitcnt vmcnt(2)
	v_mul_f64 v[112:113], v[158:159], v[90:91]
	v_mul_f64 v[128:129], v[124:125], v[70:71]
	v_fma_f64 v[124:125], v[156:157], v[88:89], -v[112:113]
	s_waitcnt vmcnt(1)
	v_mul_f64 v[112:113], v[164:165], v[86:87]
	v_mul_f64 v[114:115], v[132:133], v[98:99]
	;; [unrolled: 1-line block ×3, first 2 shown]
	v_fma_f64 v[156:157], v[162:163], v[84:85], -v[112:113]
	s_waitcnt vmcnt(0)
	v_mul_f64 v[112:113], v[168:169], v[102:103]
	v_fmac_f64_e32 v[114:115], v[134:135], v[96:97]
	v_mul_f64 v[132:133], v[152:153], v[94:95]
	v_mul_f64 v[140:141], v[162:163], v[86:87]
	v_fma_f64 v[136:137], v[166:167], v[100:101], -v[112:113]
	v_add_f64 v[112:113], v[138:139], v[142:143]
	v_add_f64 v[134:135], v[130:131], v[156:157]
	v_fmac_f64_e32 v[128:129], v[126:127], v[68:69]
	v_fmac_f64_e32 v[132:133], v[154:155], v[92:93]
	;; [unrolled: 1-line block ×4, first 2 shown]
	v_add_f64 v[158:159], v[104:105], v[130:131]
	v_fma_f64 v[112:113], -0.5, v[112:113], v[104:105]
	v_fmac_f64_e32 v[104:105], -0.5, v[134:135]
	v_add_f64 v[134:135], v[138:139], -v[130:131]
	v_add_f64 v[152:153], v[142:143], -v[156:157]
	v_add_f64 v[162:163], v[134:135], v[152:153]
	v_add_f64 v[134:135], v[128:129], v[132:133]
	;; [unrolled: 1-line block ×3, first 2 shown]
	v_fma_f64 v[134:135], -0.5, v[134:135], v[106:107]
	v_add_f64 v[164:165], v[106:107], v[122:123]
	v_fmac_f64_e32 v[106:107], -0.5, v[152:153]
	v_add_f64 v[152:153], v[128:129], -v[122:123]
	v_add_f64 v[154:155], v[132:133], -v[140:141]
	v_mul_f64 v[126:127], v[166:167], v[102:103]
	v_add_f64 v[166:167], v[152:153], v[154:155]
	v_add_f64 v[152:153], v[120:121], v[124:125]
	v_fmac_f64_e32 v[126:127], v[168:169], v[100:101]
	v_fma_f64 v[168:169], -0.5, v[152:153], v[170:171]
	v_add_f64 v[152:153], v[116:117], v[136:137]
	v_add_f64 v[176:177], v[170:171], v[116:117]
	v_fmac_f64_e32 v[170:171], -0.5, v[152:153]
	v_add_f64 v[152:153], v[120:121], -v[116:117]
	v_add_f64 v[154:155], v[124:125], -v[136:137]
	v_add_f64 v[178:179], v[152:153], v[154:155]
	v_add_f64 v[152:153], v[114:115], v[118:119]
	v_fma_f64 v[180:181], -0.5, v[152:153], v[172:173]
	v_add_f64 v[152:153], v[110:111], v[126:127]
	v_add_f64 v[182:183], v[172:173], v[110:111]
	v_fmac_f64_e32 v[172:173], -0.5, v[152:153]
	v_add_f64 v[202:203], v[120:121], -v[124:125]
	v_add_f64 v[152:153], v[114:115], -v[110:111]
	;; [unrolled: 1-line block ×4, first 2 shown]
	v_fma_f64 v[204:205], s[2:3], v[202:203], v[172:173]
	v_fmac_f64_e32 v[172:173], s[18:19], v[202:203]
	v_add_f64 v[206:207], v[116:117], -v[136:137]
	v_add_f64 v[184:185], v[152:153], v[154:155]
	v_fma_f64 v[188:189], s[18:19], v[186:187], v[170:171]
	v_fmac_f64_e32 v[170:171], s[2:3], v[186:187]
	v_add_f64 v[190:191], v[110:111], -v[126:127]
	v_fmac_f64_e32 v[172:173], s[6:7], v[206:207]
	v_fmac_f64_e32 v[170:171], s[20:21], v[190:191]
	;; [unrolled: 1-line block ×4, first 2 shown]
	v_mul_f64 v[154:155], v[172:173], s[16:17]
	v_mul_f64 v[152:153], v[170:171], s[16:17]
	v_fma_f64 v[154:155], v[170:171], s[18:19], -v[154:155]
	v_add_f64 v[170:171], v[128:129], -v[132:133]
	v_fma_f64 v[208:209], s[18:19], v[170:171], v[104:105]
	v_fmac_f64_e32 v[104:105], s[2:3], v[170:171]
	v_add_f64 v[210:211], v[122:123], -v[140:141]
	v_fmac_f64_e32 v[104:105], s[20:21], v[210:211]
	v_add_f64 v[212:213], v[138:139], -v[142:143]
	v_fma_f64 v[152:153], v[172:173], s[2:3], -v[152:153]
	v_fmac_f64_e32 v[104:105], s[16:17], v[162:163]
	v_fma_f64 v[214:215], s[2:3], v[212:213], v[106:107]
	v_fmac_f64_e32 v[106:107], s[18:19], v[212:213]
	v_add_f64 v[216:217], v[130:131], -v[156:157]
	v_fmac_f64_e32 v[106:107], s[6:7], v[216:217]
	v_add_f64 v[172:173], v[104:105], v[152:153]
	v_add_f64 v[152:153], v[104:105], -v[152:153]
	v_add_f64 v[104:105], v[158:159], v[138:139]
	v_fmac_f64_e32 v[106:107], s[16:17], v[166:167]
	v_add_f64 v[104:105], v[104:105], v[142:143]
	v_add_f64 v[174:175], v[106:107], v[154:155]
	v_add_f64 v[154:155], v[106:107], -v[154:155]
	v_add_f64 v[106:107], v[130:131], -v[138:139]
	v_add_f64 v[130:131], v[104:105], v[156:157]
	v_add_f64 v[104:105], v[156:157], -v[142:143]
	v_fma_f64 v[138:139], s[2:3], v[210:211], v[112:113]
	v_fmac_f64_e32 v[112:113], s[18:19], v[210:211]
	v_add_f64 v[104:105], v[106:107], v[104:105]
	v_fmac_f64_e32 v[138:139], s[6:7], v[170:171]
	v_fmac_f64_e32 v[112:113], s[20:21], v[170:171]
	;; [unrolled: 1-line block ×4, first 2 shown]
	v_add_f64 v[104:105], v[164:165], v[128:129]
	v_add_f64 v[104:105], v[104:105], v[132:133]
	v_add_f64 v[106:107], v[122:123], -v[128:129]
	v_add_f64 v[122:123], v[104:105], v[140:141]
	v_add_f64 v[104:105], v[140:141], -v[132:133]
	v_fma_f64 v[128:129], s[18:19], v[216:217], v[134:135]
	v_fmac_f64_e32 v[134:135], s[2:3], v[216:217]
	v_add_f64 v[104:105], v[106:107], v[104:105]
	v_fmac_f64_e32 v[128:129], s[20:21], v[212:213]
	v_fmac_f64_e32 v[134:135], s[6:7], v[212:213]
	;; [unrolled: 1-line block ×4, first 2 shown]
	v_add_f64 v[104:105], v[176:177], v[120:121]
	v_add_f64 v[104:105], v[104:105], v[124:125]
	v_add_f64 v[106:107], v[116:117], -v[120:121]
	v_add_f64 v[116:117], v[104:105], v[136:137]
	v_add_f64 v[104:105], v[136:137], -v[124:125]
	v_add_f64 v[104:105], v[106:107], v[104:105]
	v_fma_f64 v[106:107], s[2:3], v[190:191], v[168:169]
	v_fmac_f64_e32 v[168:169], s[18:19], v[190:191]
	v_fmac_f64_e32 v[106:107], s[6:7], v[186:187]
	;; [unrolled: 1-line block ×5, first 2 shown]
	v_add_f64 v[104:105], v[182:183], v[114:115]
	v_add_f64 v[104:105], v[104:105], v[118:119]
	v_add_f64 v[110:111], v[110:111], -v[114:115]
	v_add_f64 v[120:121], v[104:105], v[126:127]
	v_add_f64 v[104:105], v[126:127], -v[118:119]
	v_add_f64 v[104:105], v[110:111], v[104:105]
	v_fma_f64 v[110:111], s[18:19], v[206:207], v[180:181]
	v_fmac_f64_e32 v[180:181], s[2:3], v[206:207]
	v_fmac_f64_e32 v[188:189], s[6:7], v[190:191]
	;; [unrolled: 1-line block ×9, first 2 shown]
	v_mul_f64 v[132:133], v[106:107], s[20:21]
	v_mul_f64 v[104:105], v[168:169], s[22:23]
	v_fmac_f64_e32 v[208:209], s[6:7], v[210:211]
	v_fmac_f64_e32 v[214:215], s[20:21], v[216:217]
	v_mul_f64 v[124:125], v[110:111], s[6:7]
	v_mul_f64 v[126:127], v[204:205], s[2:3]
	v_fmac_f64_e32 v[132:133], s[22:23], v[110:111]
	v_fma_f64 v[110:111], v[180:181], s[6:7], -v[104:105]
	v_mul_f64 v[136:137], v[188:189], s[18:19]
	v_mul_f64 v[104:105], v[180:181], s[22:23]
	v_fmac_f64_e32 v[208:209], s[16:17], v[162:163]
	v_fmac_f64_e32 v[214:215], s[16:17], v[166:167]
	;; [unrolled: 1-line block ×5, first 2 shown]
	v_fma_f64 v[140:141], v[168:169], s[20:21], -v[104:105]
	v_add_f64 v[104:105], v[130:131], v[116:117]
	v_add_f64 v[106:107], v[122:123], v[120:121]
	v_add_f64 v[114:115], v[130:131], -v[116:117]
	v_add_f64 v[116:117], v[122:123], -v[120:121]
	v_add_f64 v[118:119], v[138:139], v[124:125]
	v_add_f64 v[120:121], v[128:129], v[132:133]
	v_add_f64 v[156:157], v[138:139], -v[124:125]
	v_add_f64 v[158:159], v[128:129], -v[132:133]
	;; [unrolled: 4-line block ×4, first 2 shown]
	ds_write_b128 v201, v[104:107]
	ds_write_b128 v201, v[118:121] offset:640
	ds_write_b128 v201, v[122:125] offset:1280
	;; [unrolled: 1-line block ×9, first 2 shown]
	s_waitcnt lgkmcnt(0)
	s_barrier
	ds_read_b128 v[160:163], v192
	ds_read_b128 v[188:191], v192 offset:6400
	ds_read_b128 v[184:187], v192 offset:12800
	;; [unrolled: 1-line block ×5, first 2 shown]
	s_movk_i32 s2, 0xa0
	v_cmp_gt_u16_e64 s[2:3], s2, v196
	s_and_saveexec_b64 s[6:7], s[2:3]
	s_cbranch_execz .LBB0_9
; %bb.8:
	ds_read_b128 v[164:167], v192 offset:10240
	ds_read_b128 v[152:155], v192 offset:16640
	;; [unrolled: 1-line block ×6, first 2 shown]
.LBB0_9:
	s_or_b64 exec, exec, s[6:7]
	s_movk_i32 s6, 0x50
	v_mov_b64_e32 v[104:105], s[0:1]
	v_mad_u64_u32 v[104:105], s[6:7], v196, s6, v[104:105]
	s_movk_i32 s16, 0x1000
	s_mov_b64 s[6:7], 0x18c0
	v_add_co_u32_e32 v106, vcc, s16, v104
	s_nop 1
	v_addc_co_u32_e32 v107, vcc, 0, v105, vcc
	v_lshl_add_u64 v[104:105], v[104:105], 0, s[6:7]
	global_load_dwordx4 v[124:127], v[106:107], off offset:2240
	global_load_dwordx4 v[136:139], v[104:105], off offset:16
	;; [unrolled: 1-line block ×5, first 2 shown]
	v_add_u32_e32 v104, 0xffffff60, v196
	v_cndmask_b32_e64 v104, v104, v108, s[2:3]
	v_mul_hi_i32_i24_e32 v105, 0x50, v104
	v_mul_i32_i24_e32 v104, 0x50, v104
	v_lshl_add_u64 v[108:109], s[0:1], 0, v[104:105]
	v_add_co_u32_e32 v120, vcc, s16, v108
	v_lshl_add_u64 v[112:113], v[108:109], 0, s[6:7]
	s_nop 0
	v_addc_co_u32_e32 v121, vcc, 0, v109, vcc
	global_load_dwordx4 v[104:107], v[120:121], off offset:2240
	global_load_dwordx4 v[116:119], v[112:113], off offset:16
	;; [unrolled: 1-line block ×3, first 2 shown]
	s_nop 0
	global_load_dwordx4 v[112:115], v[112:113], off offset:48
	s_nop 0
	global_load_dwordx4 v[120:123], v[120:121], off offset:2304
	s_mov_b32 s6, 0xe8584caa
	s_mov_b32 s7, 0x3febb67a
	;; [unrolled: 1-line block ×4, first 2 shown]
	s_waitcnt vmcnt(8) lgkmcnt(3)
	v_mul_f64 v[206:207], v[186:187], v[138:139]
	s_waitcnt vmcnt(7) lgkmcnt(2)
	v_mul_f64 v[210:211], v[182:183], v[134:135]
	v_mul_f64 v[202:203], v[190:191], v[126:127]
	s_waitcnt vmcnt(5) lgkmcnt(0)
	v_mul_f64 v[218:219], v[174:175], v[142:143]
	v_mul_f64 v[204:205], v[188:189], v[126:127]
	;; [unrolled: 1-line block ×6, first 2 shown]
	v_fma_f64 v[184:185], v[184:185], v[136:137], -v[206:207]
	v_fma_f64 v[180:181], v[180:181], v[132:133], -v[210:211]
	;; [unrolled: 1-line block ×3, first 2 shown]
	v_mul_f64 v[216:217], v[176:177], v[130:131]
	s_waitcnt vmcnt(2)
	v_mul_f64 v[218:219], v[168:169], v[110:111]
	v_fma_f64 v[188:189], v[188:189], v[124:125], -v[202:203]
	v_fmac_f64_e32 v[204:205], v[190:191], v[124:125]
	v_fmac_f64_e32 v[212:213], v[182:183], v[132:133]
	v_fma_f64 v[176:177], v[176:177], v[128:129], -v[214:215]
	v_fmac_f64_e32 v[220:221], v[174:175], v[140:141]
	v_mul_f64 v[214:215], v[152:153], v[118:119]
	v_mul_f64 v[182:183], v[170:171], v[110:111]
	s_waitcnt vmcnt(1)
	v_mul_f64 v[222:223], v[144:145], v[114:115]
	s_waitcnt vmcnt(0)
	v_mul_f64 v[190:191], v[150:151], v[122:123]
	v_add_f64 v[202:203], v[160:161], v[184:185]
	v_fmac_f64_e32 v[218:219], v[170:171], v[108:109]
	v_add_f64 v[170:171], v[180:181], v[172:173]
	v_fmac_f64_e32 v[208:209], v[186:187], v[136:137]
	v_fmac_f64_e32 v[216:217], v[178:179], v[128:129]
	v_mul_f64 v[174:175], v[166:167], v[106:107]
	v_mul_f64 v[178:179], v[154:155], v[118:119]
	v_mul_f64 v[186:187], v[146:147], v[114:115]
	v_mul_f64 v[224:225], v[148:149], v[122:123]
	v_add_f64 v[206:207], v[184:185], v[176:177]
	v_add_f64 v[184:185], v[184:185], -v[176:177]
	v_fmac_f64_e32 v[214:215], v[154:155], v[116:117]
	v_fma_f64 v[154:155], v[168:169], v[108:109], -v[182:183]
	v_fmac_f64_e32 v[222:223], v[146:147], v[112:113]
	v_fma_f64 v[146:147], v[148:149], v[120:121], -v[190:191]
	v_add_f64 v[148:149], v[202:203], v[176:177]
	v_add_f64 v[168:169], v[188:189], v[180:181]
	v_fmac_f64_e32 v[188:189], -0.5, v[170:171]
	v_add_f64 v[170:171], v[212:213], -v[220:221]
	v_add_f64 v[176:177], v[212:213], v[220:221]
	v_fma_f64 v[230:231], v[164:165], v[104:105], -v[174:175]
	v_add_f64 v[168:169], v[168:169], v[172:173]
	v_fma_f64 v[174:175], s[6:7], v[170:171], v[188:189]
	v_fmac_f64_e32 v[188:189], s[0:1], v[170:171]
	v_add_f64 v[170:171], v[204:205], v[212:213]
	v_fmac_f64_e32 v[204:205], -0.5, v[176:177]
	v_add_f64 v[172:173], v[180:181], -v[172:173]
	v_add_f64 v[226:227], v[208:209], -v[216:217]
	v_add_f64 v[228:229], v[162:163], v[208:209]
	v_add_f64 v[208:209], v[208:209], v[216:217]
	v_fma_f64 v[182:183], s[0:1], v[172:173], v[204:205]
	v_fmac_f64_e32 v[204:205], s[6:7], v[172:173]
	v_fma_f64 v[152:153], v[152:153], v[116:117], -v[178:179]
	v_fmac_f64_e32 v[160:161], -0.5, v[206:207]
	v_fmac_f64_e32 v[162:163], -0.5, v[208:209]
	v_mul_f64 v[190:191], v[188:189], -0.5
	v_mul_f64 v[208:209], v[204:205], -0.5
	v_mul_f64 v[210:211], v[164:165], v[106:107]
	v_fma_f64 v[144:145], v[144:145], v[112:113], -v[186:187]
	v_fma_f64 v[164:165], s[6:7], v[226:227], v[160:161]
	v_fmac_f64_e32 v[160:161], s[0:1], v[226:227]
	v_add_f64 v[176:177], v[148:149], v[168:169]
	v_fmac_f64_e32 v[190:191], s[6:7], v[204:205]
	v_fmac_f64_e32 v[208:209], s[0:1], v[188:189]
	v_add_f64 v[188:189], v[148:149], -v[168:169]
	v_add_f64 v[148:149], v[156:157], v[152:153]
	v_fmac_f64_e32 v[210:211], v[166:167], v[104:105]
	v_fma_f64 v[166:167], s[0:1], v[184:185], v[162:163]
	v_fmac_f64_e32 v[162:163], s[6:7], v[184:185]
	v_add_f64 v[184:185], v[160:161], v[190:191]
	v_add_f64 v[206:207], v[160:161], -v[190:191]
	v_add_f64 v[160:161], v[148:149], v[144:145]
	v_add_f64 v[148:149], v[152:153], v[144:145]
	v_mul_f64 v[172:173], v[182:183], s[6:7]
	v_fmac_f64_e32 v[156:157], -0.5, v[148:149]
	v_add_f64 v[148:149], v[214:215], -v[222:223]
	v_fmac_f64_e32 v[172:173], 0.5, v[174:175]
	v_add_f64 v[186:187], v[162:163], v[208:209]
	v_add_f64 v[208:209], v[162:163], -v[208:209]
	v_fma_f64 v[162:163], s[6:7], v[148:149], v[156:157]
	v_fmac_f64_e32 v[156:157], s[0:1], v[148:149]
	v_add_f64 v[148:149], v[158:159], v[214:215]
	v_add_f64 v[180:181], v[164:165], v[172:173]
	v_add_f64 v[202:203], v[164:165], -v[172:173]
	v_add_f64 v[164:165], v[148:149], v[222:223]
	v_add_f64 v[148:149], v[214:215], v[222:223]
	v_mul_f64 v[174:175], v[174:175], s[0:1]
	v_fmac_f64_e32 v[158:159], -0.5, v[148:149]
	v_add_f64 v[144:145], v[152:153], -v[144:145]
	v_fmac_f64_e32 v[174:175], 0.5, v[182:183]
	v_fma_f64 v[168:169], s[0:1], v[144:145], v[158:159]
	v_fmac_f64_e32 v[158:159], s[6:7], v[144:145]
	v_add_f64 v[144:145], v[230:231], v[154:155]
	v_fmac_f64_e32 v[224:225], v[150:151], v[120:121]
	v_add_f64 v[182:183], v[166:167], v[174:175]
	v_add_f64 v[204:205], v[166:167], -v[174:175]
	v_add_f64 v[166:167], v[144:145], v[146:147]
	v_add_f64 v[144:145], v[154:155], v[146:147]
	;; [unrolled: 1-line block ×4, first 2 shown]
	v_fmac_f64_e32 v[230:231], -0.5, v[144:145]
	v_add_f64 v[144:145], v[218:219], -v[224:225]
	v_add_f64 v[178:179], v[150:151], v[170:171]
	v_add_f64 v[190:191], v[150:151], -v[170:171]
	v_fma_f64 v[150:151], s[6:7], v[144:145], v[230:231]
	v_fmac_f64_e32 v[230:231], s[0:1], v[144:145]
	v_add_f64 v[144:145], v[210:211], v[218:219]
	v_add_f64 v[170:171], v[144:145], v[224:225]
	;; [unrolled: 1-line block ×3, first 2 shown]
	v_fmac_f64_e32 v[210:211], -0.5, v[144:145]
	v_add_f64 v[144:145], v[154:155], -v[146:147]
	v_fma_f64 v[146:147], s[0:1], v[144:145], v[210:211]
	v_fmac_f64_e32 v[210:211], s[6:7], v[144:145]
	v_mul_f64 v[154:155], v[230:231], -0.5
	v_mul_f64 v[172:173], v[146:147], s[6:7]
	v_fmac_f64_e32 v[154:155], s[6:7], v[210:211]
	v_mul_f64 v[174:175], v[150:151], s[0:1]
	v_mul_f64 v[210:211], v[210:211], -0.5
	v_fmac_f64_e32 v[172:173], 0.5, v[150:151]
	v_fmac_f64_e32 v[174:175], 0.5, v[146:147]
	v_fmac_f64_e32 v[210:211], s[0:1], v[230:231]
	v_add_f64 v[148:149], v[156:157], v[154:155]
	v_add_f64 v[150:151], v[158:159], v[210:211]
	v_add_f64 v[144:145], v[160:161], -v[166:167]
	v_add_f64 v[152:153], v[162:163], -v[172:173]
	;; [unrolled: 1-line block ×6, first 2 shown]
	ds_write_b128 v192, v[176:179]
	ds_write_b128 v192, v[180:183] offset:6400
	ds_write_b128 v192, v[184:187] offset:12800
	;; [unrolled: 1-line block ×5, first 2 shown]
	s_and_saveexec_b64 s[0:1], s[2:3]
	s_cbranch_execz .LBB0_11
; %bb.10:
	v_add_f64 v[164:165], v[164:165], v[170:171]
	v_add_f64 v[172:173], v[162:163], v[172:173]
	;; [unrolled: 1-line block ×4, first 2 shown]
	ds_write_b128 v192, v[162:165] offset:3840
	ds_write_b128 v192, v[172:175] offset:10240
	;; [unrolled: 1-line block ×6, first 2 shown]
.LBB0_11:
	s_or_b64 exec, exec, s[0:1]
	v_lshlrev_b32_e32 v160, 4, v196
	v_mov_b32_e32 v161, 0
	v_lshl_add_u64 v[166:167], s[14:15], 0, v[160:161]
	s_mov_b64 s[0:1], 0x9600
	v_lshl_add_u64 v[164:165], v[166:167], 0, s[0:1]
	s_mov_b32 s0, 0x9000
	v_add_co_u32_e32 v160, vcc, s0, v166
	s_mov_b32 s0, 0xb000
	s_nop 0
	v_addc_co_u32_e32 v161, vcc, 0, v167, vcc
	v_add_co_u32_e32 v168, vcc, s0, v166
	s_mov_b32 s0, 0xe000
	s_nop 0
	v_addc_co_u32_e32 v169, vcc, 0, v167, vcc
	;; [unrolled: 4-line block ×4, first 2 shown]
	s_waitcnt lgkmcnt(0)
	s_barrier
	global_load_dwordx4 v[160:163], v[160:161], off offset:1536
	v_add_co_u32_e32 v184, vcc, s0, v166
	global_load_dwordx4 v[168:171], v[168:169], off offset:2944
	s_nop 0
	global_load_dwordx4 v[172:175], v[172:173], off offset:256
	s_nop 0
	;; [unrolled: 2-line block ×3, first 2 shown]
	global_load_dwordx4 v[180:183], v[164:165], off offset:3840
	v_addc_co_u32_e32 v185, vcc, 0, v167, vcc
	s_mov_b32 s0, 0xf000
	global_load_dwordx4 v[184:187], v[184:185], off offset:2688
	v_add_co_u32_e32 v188, vcc, s0, v166
	s_mov_b32 s0, 0x11000
	s_nop 0
	v_addc_co_u32_e32 v189, vcc, 0, v167, vcc
	global_load_dwordx4 v[188:191], v[188:189], off
	v_add_co_u32_e32 v166, vcc, s0, v166
	s_nop 1
	v_addc_co_u32_e32 v167, vcc, 0, v167, vcc
	global_load_dwordx4 v[202:205], v[166:167], off offset:1408
	ds_read_b128 v[206:209], v192
	ds_read_b128 v[210:213], v192 offset:3840
	ds_read_b128 v[214:217], v192 offset:9600
	;; [unrolled: 1-line block ×7, first 2 shown]
	s_waitcnt vmcnt(7) lgkmcnt(7)
	v_mul_f64 v[166:167], v[208:209], v[162:163]
	v_mul_f64 v[240:241], v[206:207], v[162:163]
	s_waitcnt vmcnt(6) lgkmcnt(5)
	v_mul_f64 v[162:163], v[214:215], v[170:171]
	v_mul_f64 v[242:243], v[216:217], v[170:171]
	;; [unrolled: 3-line block ×4, first 2 shown]
	s_waitcnt vmcnt(3)
	v_mul_f64 v[248:249], v[212:213], v[182:183]
	v_mul_f64 v[178:179], v[210:211], v[182:183]
	v_fma_f64 v[238:239], v[206:207], v[160:161], -v[166:167]
	v_fmac_f64_e32 v[240:241], v[208:209], v[160:161]
	v_fmac_f64_e32 v[162:163], v[216:217], v[168:169]
	s_waitcnt vmcnt(2)
	v_mul_f64 v[182:183], v[220:221], v[186:187]
	v_fma_f64 v[160:161], v[214:215], v[168:169], -v[242:243]
	v_fma_f64 v[168:169], v[222:223], v[172:173], -v[244:245]
	v_fmac_f64_e32 v[170:171], v[224:225], v[172:173]
	v_fma_f64 v[172:173], v[230:231], v[176:177], -v[246:247]
	v_fmac_f64_e32 v[174:175], v[232:233], v[176:177]
	;; [unrolled: 2-line block ×3, first 2 shown]
	ds_write_b128 v192, v[238:241]
	ds_write_b128 v192, v[160:163] offset:9600
	ds_write_b128 v192, v[168:171] offset:19200
	;; [unrolled: 1-line block ×4, first 2 shown]
	v_mul_f64 v[162:163], v[218:219], v[186:187]
	v_fma_f64 v[160:161], v[218:219], v[184:185], -v[182:183]
	v_fmac_f64_e32 v[162:163], v[220:221], v[184:185]
	ds_write_b128 v192, v[160:163] offset:13440
	s_waitcnt vmcnt(1)
	v_mul_f64 v[160:161], v[228:229], v[190:191]
	v_mul_f64 v[162:163], v[226:227], v[190:191]
	v_fma_f64 v[160:161], v[226:227], v[188:189], -v[160:161]
	v_fmac_f64_e32 v[162:163], v[228:229], v[188:189]
	ds_write_b128 v192, v[160:163] offset:23040
	s_waitcnt vmcnt(0) lgkmcnt(7)
	v_mul_f64 v[160:161], v[236:237], v[204:205]
	v_mul_f64 v[162:163], v[234:235], v[204:205]
	v_fma_f64 v[160:161], v[234:235], v[202:203], -v[160:161]
	v_fmac_f64_e32 v[162:163], v[236:237], v[202:203]
	ds_write_b128 v192, v[160:163] offset:32640
	s_and_saveexec_b64 s[0:1], s[4:5]
	s_cbranch_execz .LBB0_13
; %bb.12:
	v_add_co_u32_e32 v160, vcc, 0x1000, v164
	s_movk_i32 s6, 0x4000
	s_nop 0
	v_addc_co_u32_e32 v161, vcc, 0, v165, vcc
	v_add_co_u32_e32 v166, vcc, s6, v164
	s_movk_i32 s6, 0x6000
	s_nop 0
	v_addc_co_u32_e32 v167, vcc, 0, v165, vcc
	v_add_co_u32_e32 v170, vcc, s6, v164
	s_mov_b32 s6, 0x8000
	s_nop 0
	v_addc_co_u32_e32 v171, vcc, 0, v165, vcc
	v_add_co_u32_e32 v164, vcc, s6, v164
	global_load_dwordx4 v[160:163], v[160:161], off offset:3584
	s_nop 0
	global_load_dwordx4 v[166:169], v[166:167], off offset:896
	v_addc_co_u32_e32 v165, vcc, 0, v165, vcc
	global_load_dwordx4 v[170:173], v[170:171], off offset:2304
	s_nop 0
	global_load_dwordx4 v[174:177], v[164:165], off offset:3712
	ds_read_b128 v[178:181], v192 offset:7680
	ds_read_b128 v[182:185], v192 offset:17280
	;; [unrolled: 1-line block ×4, first 2 shown]
	s_waitcnt vmcnt(3) lgkmcnt(3)
	v_mul_f64 v[190:191], v[180:181], v[162:163]
	v_mul_f64 v[164:165], v[178:179], v[162:163]
	s_waitcnt vmcnt(2) lgkmcnt(2)
	v_mul_f64 v[206:207], v[184:185], v[168:169]
	v_mul_f64 v[208:209], v[182:183], v[168:169]
	s_waitcnt vmcnt(1) lgkmcnt(1)
	v_mul_f64 v[210:211], v[188:189], v[172:173]
	v_mul_f64 v[168:169], v[186:187], v[172:173]
	s_waitcnt vmcnt(0) lgkmcnt(0)
	v_mul_f64 v[212:213], v[204:205], v[176:177]
	v_mul_f64 v[172:173], v[202:203], v[176:177]
	v_fma_f64 v[162:163], v[178:179], v[160:161], -v[190:191]
	v_fmac_f64_e32 v[164:165], v[180:181], v[160:161]
	v_fma_f64 v[206:207], v[182:183], v[166:167], -v[206:207]
	v_fmac_f64_e32 v[208:209], v[184:185], v[166:167]
	v_fma_f64 v[166:167], v[186:187], v[170:171], -v[210:211]
	v_fmac_f64_e32 v[168:169], v[188:189], v[170:171]
	v_fma_f64 v[170:171], v[202:203], v[174:175], -v[212:213]
	v_fmac_f64_e32 v[172:173], v[204:205], v[174:175]
	ds_write_b128 v192, v[162:165] offset:7680
	ds_write_b128 v192, v[206:209] offset:17280
	;; [unrolled: 1-line block ×4, first 2 shown]
.LBB0_13:
	s_or_b64 exec, exec, s[0:1]
	s_waitcnt lgkmcnt(0)
	s_barrier
	ds_read_b128 v[176:179], v192
	ds_read_b128 v[164:167], v192 offset:3840
	ds_read_b128 v[180:183], v192 offset:9600
	;; [unrolled: 1-line block ×7, first 2 shown]
	s_and_saveexec_b64 s[0:1], s[4:5]
	s_cbranch_execz .LBB0_15
; %bb.14:
	ds_read_b128 v[144:147], v192 offset:17280
	ds_read_b128 v[152:155], v192 offset:26880
	;; [unrolled: 1-line block ×4, first 2 shown]
.LBB0_15:
	s_or_b64 exec, exec, s[0:1]
	s_waitcnt lgkmcnt(3)
	v_add_f64 v[188:189], v[176:177], -v[188:189]
	v_add_f64 v[190:191], v[178:179], -v[190:191]
	s_waitcnt lgkmcnt(1)
	v_add_f64 v[206:207], v[180:181], -v[184:185]
	v_add_f64 v[184:185], v[182:183], -v[186:187]
	v_fma_f64 v[202:203], v[176:177], 2.0, -v[188:189]
	v_fma_f64 v[204:205], v[178:179], 2.0, -v[190:191]
	;; [unrolled: 1-line block ×4, first 2 shown]
	v_add_f64 v[176:177], v[202:203], -v[176:177]
	v_add_f64 v[178:179], v[204:205], -v[178:179]
	v_fma_f64 v[180:181], v[202:203], 2.0, -v[176:177]
	v_fma_f64 v[182:183], v[204:205], 2.0, -v[178:179]
	v_add_f64 v[186:187], v[190:191], -v[206:207]
	v_add_f64 v[202:203], v[164:165], -v[172:173]
	;; [unrolled: 1-line block ×3, first 2 shown]
	s_waitcnt lgkmcnt(0)
	v_add_f64 v[206:207], v[160:161], -v[168:169]
	v_add_f64 v[208:209], v[162:163], -v[170:171]
	v_fma_f64 v[172:173], v[164:165], 2.0, -v[202:203]
	v_fma_f64 v[174:175], v[166:167], 2.0, -v[204:205]
	;; [unrolled: 1-line block ×4, first 2 shown]
	v_add_f64 v[164:165], v[172:173], -v[160:161]
	v_add_f64 v[166:167], v[174:175], -v[162:163]
	v_add_f64 v[160:161], v[148:149], -v[152:153]
	v_add_f64 v[162:163], v[150:151], -v[154:155]
	v_add_f64 v[156:157], v[144:145], -v[156:157]
	v_add_f64 v[158:159], v[146:147], -v[158:159]
	v_fma_f64 v[152:153], v[148:149], 2.0, -v[160:161]
	v_fma_f64 v[154:155], v[150:151], 2.0, -v[162:163]
	;; [unrolled: 1-line block ×4, first 2 shown]
	v_add_f64 v[184:185], v[188:189], v[184:185]
	v_fma_f64 v[168:169], v[172:173], 2.0, -v[164:165]
	v_fma_f64 v[170:171], v[174:175], 2.0, -v[166:167]
	v_add_f64 v[172:173], v[202:203], v[208:209]
	v_add_f64 v[174:175], v[204:205], -v[206:207]
	v_add_f64 v[148:149], v[152:153], -v[144:145]
	;; [unrolled: 1-line block ×3, first 2 shown]
	v_add_f64 v[144:145], v[160:161], v[158:159]
	v_add_f64 v[146:147], v[162:163], -v[156:157]
	v_fma_f64 v[188:189], v[188:189], 2.0, -v[184:185]
	v_fma_f64 v[190:191], v[190:191], 2.0, -v[186:187]
	;; [unrolled: 1-line block ×4, first 2 shown]
	s_barrier
	ds_write_b128 v197, v[180:183]
	ds_write_b128 v197, v[188:191] offset:16
	ds_write_b128 v197, v[176:179] offset:32
	;; [unrolled: 1-line block ×3, first 2 shown]
	ds_write_b128 v199, v[168:171]
	ds_write_b128 v199, v[202:205] offset:16
	ds_write_b128 v199, v[164:167] offset:32
	;; [unrolled: 1-line block ×3, first 2 shown]
	s_and_saveexec_b64 s[0:1], s[4:5]
	s_cbranch_execz .LBB0_17
; %bb.16:
	v_fma_f64 v[154:155], v[154:155], 2.0, -v[150:151]
	v_fma_f64 v[152:153], v[152:153], 2.0, -v[148:149]
	;; [unrolled: 1-line block ×4, first 2 shown]
	ds_write_b128 v193, v[152:155]
	ds_write_b128 v193, v[156:159] offset:16
	ds_write_b128 v193, v[148:151] offset:32
	;; [unrolled: 1-line block ×3, first 2 shown]
.LBB0_17:
	s_or_b64 exec, exec, s[0:1]
	s_waitcnt lgkmcnt(0)
	s_barrier
	ds_read_b128 v[158:161], v192 offset:3840
	ds_read_b128 v[162:165], v192 offset:7680
	;; [unrolled: 1-line block ×8, first 2 shown]
	ds_read_b128 v[152:155], v192
	ds_read_b128 v[202:205], v192 offset:34560
	s_waitcnt lgkmcnt(9)
	v_mul_f64 v[156:157], v[46:47], v[160:161]
	v_mul_f64 v[46:47], v[46:47], v[158:159]
	v_fmac_f64_e32 v[156:157], v[44:45], v[158:159]
	v_fma_f64 v[44:45], v[44:45], v[160:161], -v[46:47]
	s_waitcnt lgkmcnt(8)
	v_mul_f64 v[46:47], v[42:43], v[164:165]
	v_mul_f64 v[42:43], v[42:43], v[162:163]
	v_fmac_f64_e32 v[46:47], v[40:41], v[162:163]
	v_fma_f64 v[40:41], v[40:41], v[164:165], -v[42:43]
	;; [unrolled: 5-line block ×8, first 2 shown]
	v_add_f64 v[158:159], v[38:39], v[62:63]
	s_mov_b32 s16, 0x134454ff
	s_waitcnt lgkmcnt(1)
	v_fma_f64 v[158:159], -0.5, v[158:159], v[152:153]
	v_add_f64 v[160:161], v[40:41], -v[48:49]
	s_mov_b32 s17, 0xbfee6f0e
	s_mov_b32 s18, 0x4755a5e
	;; [unrolled: 1-line block ×4, first 2 shown]
	v_fma_f64 v[162:163], s[16:17], v[160:161], v[158:159]
	v_add_f64 v[164:165], v[32:33], -v[56:57]
	s_mov_b32 s19, 0xbfe2cf23
	v_add_f64 v[166:167], v[46:47], -v[38:39]
	v_add_f64 v[168:169], v[54:55], -v[62:63]
	s_mov_b32 s14, 0x372fe950
	v_fmac_f64_e32 v[158:159], s[6:7], v[160:161]
	s_mov_b32 s1, 0x3fe2cf23
	s_mov_b32 s0, s18
	v_fmac_f64_e32 v[162:163], s[18:19], v[164:165]
	v_add_f64 v[166:167], v[166:167], v[168:169]
	s_mov_b32 s15, 0x3fd3c6ef
	v_fmac_f64_e32 v[158:159], s[0:1], v[164:165]
	s_waitcnt lgkmcnt(0)
	v_mul_f64 v[50:51], v[66:67], v[204:205]
	v_mul_f64 v[66:67], v[66:67], v[202:203]
	v_fmac_f64_e32 v[162:163], s[14:15], v[166:167]
	v_fmac_f64_e32 v[158:159], s[14:15], v[166:167]
	v_add_f64 v[166:167], v[46:47], v[54:55]
	v_fmac_f64_e32 v[50:51], v[64:65], v[202:203]
	v_fma_f64 v[64:65], v[64:65], v[204:205], -v[66:67]
	v_add_f64 v[66:67], v[152:153], v[46:47]
	v_fmac_f64_e32 v[152:153], -0.5, v[166:167]
	v_add_f64 v[66:67], v[66:67], v[38:39]
	v_fma_f64 v[166:167], s[6:7], v[164:165], v[152:153]
	v_add_f64 v[168:169], v[38:39], -v[46:47]
	v_add_f64 v[170:171], v[62:63], -v[54:55]
	v_fmac_f64_e32 v[152:153], s[16:17], v[164:165]
	v_add_f64 v[164:165], v[32:33], v[56:57]
	v_add_f64 v[66:67], v[66:67], v[62:63]
	v_fmac_f64_e32 v[166:167], s[18:19], v[160:161]
	v_add_f64 v[168:169], v[168:169], v[170:171]
	v_fmac_f64_e32 v[152:153], s[0:1], v[160:161]
	v_fma_f64 v[164:165], -0.5, v[164:165], v[154:155]
	v_add_f64 v[46:47], v[46:47], -v[54:55]
	v_add_f64 v[66:67], v[66:67], v[54:55]
	v_fmac_f64_e32 v[166:167], s[14:15], v[168:169]
	v_fmac_f64_e32 v[152:153], s[14:15], v[168:169]
	v_fma_f64 v[168:169], s[6:7], v[46:47], v[164:165]
	v_add_f64 v[38:39], v[38:39], -v[62:63]
	v_add_f64 v[54:55], v[40:41], -v[32:33]
	;; [unrolled: 1-line block ×3, first 2 shown]
	v_fmac_f64_e32 v[164:165], s[16:17], v[46:47]
	v_fmac_f64_e32 v[168:169], s[0:1], v[38:39]
	v_add_f64 v[54:55], v[54:55], v[62:63]
	v_fmac_f64_e32 v[164:165], s[18:19], v[38:39]
	v_fmac_f64_e32 v[168:169], s[14:15], v[54:55]
	;; [unrolled: 1-line block ×3, first 2 shown]
	v_add_f64 v[54:55], v[40:41], v[48:49]
	v_add_f64 v[160:161], v[154:155], v[40:41]
	v_fmac_f64_e32 v[154:155], -0.5, v[54:55]
	v_add_f64 v[160:161], v[160:161], v[32:33]
	v_fma_f64 v[170:171], s[16:17], v[38:39], v[154:155]
	v_add_f64 v[32:33], v[32:33], -v[40:41]
	v_add_f64 v[40:41], v[56:57], -v[48:49]
	v_fmac_f64_e32 v[154:155], s[6:7], v[38:39]
	v_fmac_f64_e32 v[170:171], s[0:1], v[46:47]
	v_add_f64 v[32:33], v[32:33], v[40:41]
	v_fmac_f64_e32 v[154:155], s[18:19], v[46:47]
	v_fmac_f64_e32 v[170:171], s[14:15], v[32:33]
	;; [unrolled: 1-line block ×3, first 2 shown]
	v_add_f64 v[32:33], v[156:157], v[42:43]
	v_add_f64 v[32:33], v[32:33], v[34:35]
	;; [unrolled: 1-line block ×6, first 2 shown]
	v_fma_f64 v[56:57], -0.5, v[32:33], v[156:157]
	v_add_f64 v[32:33], v[36:37], -v[64:65]
	v_add_f64 v[160:161], v[160:161], v[48:49]
	v_fma_f64 v[38:39], s[16:17], v[32:33], v[56:57]
	v_add_f64 v[40:41], v[60:61], -v[52:53]
	v_add_f64 v[46:47], v[42:43], -v[34:35]
	;; [unrolled: 1-line block ×3, first 2 shown]
	v_fmac_f64_e32 v[56:57], s[6:7], v[32:33]
	v_fmac_f64_e32 v[38:39], s[18:19], v[40:41]
	v_add_f64 v[46:47], v[46:47], v[48:49]
	v_fmac_f64_e32 v[56:57], s[0:1], v[40:41]
	v_fmac_f64_e32 v[38:39], s[14:15], v[46:47]
	;; [unrolled: 1-line block ×3, first 2 shown]
	v_add_f64 v[46:47], v[42:43], v[50:51]
	v_fmac_f64_e32 v[156:157], -0.5, v[46:47]
	v_fma_f64 v[48:49], s[6:7], v[40:41], v[156:157]
	v_fmac_f64_e32 v[156:157], s[16:17], v[40:41]
	v_fmac_f64_e32 v[48:49], s[18:19], v[32:33]
	;; [unrolled: 1-line block ×3, first 2 shown]
	v_add_f64 v[32:33], v[44:45], v[36:37]
	v_add_f64 v[32:33], v[32:33], v[60:61]
	;; [unrolled: 1-line block ×3, first 2 shown]
	v_add_f64 v[46:47], v[34:35], -v[42:43]
	v_add_f64 v[62:63], v[58:59], -v[50:51]
	v_add_f64 v[172:173], v[32:33], v[64:65]
	v_add_f64 v[32:33], v[60:61], v[52:53]
	;; [unrolled: 1-line block ×3, first 2 shown]
	v_fma_f64 v[62:63], -0.5, v[32:33], v[44:45]
	v_add_f64 v[32:33], v[42:43], -v[50:51]
	v_fmac_f64_e32 v[48:49], s[14:15], v[46:47]
	v_fmac_f64_e32 v[156:157], s[14:15], v[46:47]
	v_fma_f64 v[42:43], s[6:7], v[32:33], v[62:63]
	v_add_f64 v[34:35], v[34:35], -v[58:59]
	v_add_f64 v[40:41], v[36:37], -v[60:61]
	;; [unrolled: 1-line block ×3, first 2 shown]
	v_fmac_f64_e32 v[62:63], s[16:17], v[32:33]
	v_fmac_f64_e32 v[42:43], s[0:1], v[34:35]
	v_add_f64 v[40:41], v[40:41], v[46:47]
	v_fmac_f64_e32 v[62:63], s[18:19], v[34:35]
	v_fmac_f64_e32 v[42:43], s[14:15], v[40:41]
	;; [unrolled: 1-line block ×3, first 2 shown]
	v_add_f64 v[40:41], v[36:37], v[64:65]
	v_fmac_f64_e32 v[44:45], -0.5, v[40:41]
	v_fma_f64 v[58:59], s[16:17], v[34:35], v[44:45]
	v_add_f64 v[36:37], v[60:61], -v[36:37]
	v_add_f64 v[40:41], v[52:53], -v[64:65]
	v_fmac_f64_e32 v[44:45], s[6:7], v[34:35]
	v_fmac_f64_e32 v[58:59], s[0:1], v[32:33]
	v_add_f64 v[36:37], v[36:37], v[40:41]
	v_fmac_f64_e32 v[44:45], s[18:19], v[32:33]
	s_mov_b32 s20, 0x9b97f4a8
	v_fmac_f64_e32 v[58:59], s[14:15], v[36:37]
	v_fmac_f64_e32 v[44:45], s[14:15], v[36:37]
	s_mov_b32 s21, 0x3fe9e377
	s_mov_b32 s23, 0xbfd3c6ef
	;; [unrolled: 1-line block ×5, first 2 shown]
	v_mul_f64 v[60:61], v[42:43], s[18:19]
	v_mul_f64 v[64:65], v[58:59], s[16:17]
	;; [unrolled: 1-line block ×8, first 2 shown]
	v_fmac_f64_e32 v[60:61], s[20:21], v[38:39]
	v_fmac_f64_e32 v[64:65], s[14:15], v[48:49]
	;; [unrolled: 1-line block ×8, first 2 shown]
	v_add_f64 v[32:33], v[66:67], v[54:55]
	v_add_f64 v[36:37], v[162:163], v[60:61]
	;; [unrolled: 1-line block ×10, first 2 shown]
	v_add_f64 v[54:55], v[66:67], -v[54:55]
	v_add_f64 v[58:59], v[162:163], -v[60:61]
	;; [unrolled: 1-line block ×10, first 2 shown]
	s_barrier
	ds_write_b128 v200, v[32:35]
	ds_write_b128 v200, v[36:39] offset:64
	ds_write_b128 v200, v[40:43] offset:128
	;; [unrolled: 1-line block ×9, first 2 shown]
	s_waitcnt lgkmcnt(0)
	s_barrier
	ds_read_b128 v[32:35], v192 offset:3840
	ds_read_b128 v[36:39], v192 offset:7680
	;; [unrolled: 1-line block ×8, first 2 shown]
	ds_read_b128 v[40:43], v192
	ds_read_b128 v[152:155], v192 offset:34560
	s_waitcnt lgkmcnt(9)
	v_mul_f64 v[156:157], v[82:83], v[34:35]
	v_fmac_f64_e32 v[156:157], v[80:81], v[32:33]
	v_mul_f64 v[32:33], v[82:83], v[32:33]
	v_fma_f64 v[32:33], v[80:81], v[34:35], -v[32:33]
	s_waitcnt lgkmcnt(8)
	v_mul_f64 v[34:35], v[78:79], v[38:39]
	v_fmac_f64_e32 v[34:35], v[76:77], v[36:37]
	v_mul_f64 v[36:37], v[78:79], v[36:37]
	v_fma_f64 v[36:37], v[76:77], v[38:39], -v[36:37]
	s_waitcnt lgkmcnt(7)
	v_mul_f64 v[38:39], v[74:75], v[46:47]
	v_fmac_f64_e32 v[38:39], v[72:73], v[44:45]
	v_mul_f64 v[44:45], v[74:75], v[44:45]
	v_fma_f64 v[44:45], v[72:73], v[46:47], -v[44:45]
	s_waitcnt lgkmcnt(6)
	v_mul_f64 v[46:47], v[70:71], v[50:51]
	v_fmac_f64_e32 v[46:47], v[68:69], v[48:49]
	v_mul_f64 v[48:49], v[70:71], v[48:49]
	v_fma_f64 v[48:49], v[68:69], v[50:51], -v[48:49]
	s_waitcnt lgkmcnt(5)
	v_mul_f64 v[50:51], v[98:99], v[54:55]
	v_fmac_f64_e32 v[50:51], v[96:97], v[52:53]
	v_mul_f64 v[52:53], v[98:99], v[52:53]
	v_fma_f64 v[52:53], v[96:97], v[54:55], -v[52:53]
	s_waitcnt lgkmcnt(4)
	v_mul_f64 v[54:55], v[94:95], v[58:59]
	v_fmac_f64_e32 v[54:55], v[92:93], v[56:57]
	v_mul_f64 v[56:57], v[94:95], v[56:57]
	v_fma_f64 v[56:57], v[92:93], v[58:59], -v[56:57]
	s_waitcnt lgkmcnt(3)
	v_mul_f64 v[58:59], v[90:91], v[62:63]
	v_fmac_f64_e32 v[58:59], v[88:89], v[60:61]
	v_mul_f64 v[60:61], v[90:91], v[60:61]
	v_fma_f64 v[60:61], v[88:89], v[62:63], -v[60:61]
	s_waitcnt lgkmcnt(2)
	v_mul_f64 v[62:63], v[86:87], v[66:67]
	v_fmac_f64_e32 v[62:63], v[84:85], v[64:65]
	v_mul_f64 v[64:65], v[86:87], v[64:65]
	v_fma_f64 v[64:65], v[84:85], v[66:67], -v[64:65]
	v_add_f64 v[72:73], v[46:47], v[54:55]
	s_waitcnt lgkmcnt(1)
	v_fma_f64 v[72:73], -0.5, v[72:73], v[40:41]
	v_add_f64 v[74:75], v[36:37], -v[64:65]
	v_fma_f64 v[76:77], s[16:17], v[74:75], v[72:73]
	v_add_f64 v[78:79], v[48:49], -v[56:57]
	v_add_f64 v[80:81], v[34:35], -v[46:47]
	;; [unrolled: 1-line block ×3, first 2 shown]
	v_fmac_f64_e32 v[72:73], s[6:7], v[74:75]
	v_fmac_f64_e32 v[76:77], s[18:19], v[78:79]
	v_add_f64 v[80:81], v[80:81], v[82:83]
	v_fmac_f64_e32 v[72:73], s[0:1], v[78:79]
	v_fmac_f64_e32 v[76:77], s[14:15], v[80:81]
	;; [unrolled: 1-line block ×3, first 2 shown]
	v_add_f64 v[80:81], v[34:35], v[62:63]
	v_add_f64 v[70:71], v[40:41], v[34:35]
	v_fmac_f64_e32 v[40:41], -0.5, v[80:81]
	v_add_f64 v[70:71], v[70:71], v[46:47]
	v_fma_f64 v[80:81], s[6:7], v[78:79], v[40:41]
	v_add_f64 v[82:83], v[46:47], -v[34:35]
	v_add_f64 v[84:85], v[54:55], -v[62:63]
	v_fmac_f64_e32 v[40:41], s[16:17], v[78:79]
	v_add_f64 v[78:79], v[48:49], v[56:57]
	v_add_f64 v[70:71], v[70:71], v[54:55]
	v_fmac_f64_e32 v[80:81], s[18:19], v[74:75]
	v_add_f64 v[82:83], v[82:83], v[84:85]
	v_fmac_f64_e32 v[40:41], s[0:1], v[74:75]
	v_fma_f64 v[78:79], -0.5, v[78:79], v[42:43]
	v_add_f64 v[34:35], v[34:35], -v[62:63]
	v_add_f64 v[70:71], v[70:71], v[62:63]
	v_fmac_f64_e32 v[80:81], s[14:15], v[82:83]
	v_fmac_f64_e32 v[40:41], s[14:15], v[82:83]
	v_fma_f64 v[82:83], s[6:7], v[34:35], v[78:79]
	v_add_f64 v[46:47], v[46:47], -v[54:55]
	v_add_f64 v[54:55], v[36:37], -v[48:49]
	;; [unrolled: 1-line block ×3, first 2 shown]
	v_fmac_f64_e32 v[78:79], s[16:17], v[34:35]
	v_fmac_f64_e32 v[82:83], s[0:1], v[46:47]
	v_add_f64 v[54:55], v[54:55], v[62:63]
	v_fmac_f64_e32 v[78:79], s[18:19], v[46:47]
	v_fmac_f64_e32 v[82:83], s[14:15], v[54:55]
	;; [unrolled: 1-line block ×3, first 2 shown]
	v_add_f64 v[54:55], v[36:37], v[64:65]
	v_add_f64 v[74:75], v[42:43], v[36:37]
	v_fmac_f64_e32 v[42:43], -0.5, v[54:55]
	v_add_f64 v[74:75], v[74:75], v[48:49]
	v_fma_f64 v[84:85], s[16:17], v[46:47], v[42:43]
	v_add_f64 v[36:37], v[48:49], -v[36:37]
	v_add_f64 v[48:49], v[56:57], -v[64:65]
	v_fmac_f64_e32 v[42:43], s[6:7], v[46:47]
	s_waitcnt lgkmcnt(0)
	v_mul_f64 v[68:69], v[102:103], v[152:153]
	v_fmac_f64_e32 v[84:85], s[0:1], v[34:35]
	v_add_f64 v[36:37], v[36:37], v[48:49]
	v_fmac_f64_e32 v[42:43], s[18:19], v[34:35]
	v_mul_f64 v[66:67], v[102:103], v[154:155]
	v_fma_f64 v[68:69], v[100:101], v[154:155], -v[68:69]
	v_fmac_f64_e32 v[84:85], s[14:15], v[36:37]
	v_fmac_f64_e32 v[42:43], s[14:15], v[36:37]
	v_add_f64 v[36:37], v[50:51], v[58:59]
	v_fmac_f64_e32 v[66:67], v[100:101], v[152:153]
	v_fma_f64 v[36:37], -0.5, v[36:37], v[156:157]
	v_add_f64 v[46:47], v[44:45], -v[68:69]
	v_add_f64 v[74:75], v[74:75], v[56:57]
	v_fma_f64 v[54:55], s[16:17], v[46:47], v[36:37]
	v_add_f64 v[48:49], v[52:53], -v[60:61]
	v_add_f64 v[56:57], v[38:39], -v[50:51]
	;; [unrolled: 1-line block ×3, first 2 shown]
	v_fmac_f64_e32 v[36:37], s[6:7], v[46:47]
	v_fmac_f64_e32 v[54:55], s[18:19], v[48:49]
	v_add_f64 v[56:57], v[56:57], v[62:63]
	v_fmac_f64_e32 v[36:37], s[0:1], v[48:49]
	v_fmac_f64_e32 v[54:55], s[14:15], v[56:57]
	;; [unrolled: 1-line block ×3, first 2 shown]
	v_add_f64 v[56:57], v[38:39], v[66:67]
	v_add_f64 v[34:35], v[156:157], v[38:39]
	v_fmac_f64_e32 v[156:157], -0.5, v[56:57]
	v_add_f64 v[74:75], v[74:75], v[64:65]
	v_add_f64 v[34:35], v[34:35], v[50:51]
	v_fma_f64 v[62:63], s[6:7], v[48:49], v[156:157]
	v_add_f64 v[56:57], v[50:51], -v[38:39]
	v_add_f64 v[64:65], v[58:59], -v[66:67]
	v_fmac_f64_e32 v[156:157], s[16:17], v[48:49]
	v_add_f64 v[48:49], v[52:53], v[60:61]
	v_add_f64 v[34:35], v[34:35], v[58:59]
	v_fmac_f64_e32 v[62:63], s[18:19], v[46:47]
	v_add_f64 v[56:57], v[56:57], v[64:65]
	v_fmac_f64_e32 v[156:157], s[0:1], v[46:47]
	v_fma_f64 v[86:87], -0.5, v[48:49], v[32:33]
	v_add_f64 v[38:39], v[38:39], -v[66:67]
	v_add_f64 v[34:35], v[34:35], v[66:67]
	v_fmac_f64_e32 v[62:63], s[14:15], v[56:57]
	v_fmac_f64_e32 v[156:157], s[14:15], v[56:57]
	v_fma_f64 v[66:67], s[6:7], v[38:39], v[86:87]
	v_add_f64 v[48:49], v[50:51], -v[58:59]
	v_add_f64 v[50:51], v[44:45], -v[52:53]
	;; [unrolled: 1-line block ×3, first 2 shown]
	v_fmac_f64_e32 v[86:87], s[16:17], v[38:39]
	v_fmac_f64_e32 v[66:67], s[0:1], v[48:49]
	v_add_f64 v[50:51], v[50:51], v[56:57]
	v_fmac_f64_e32 v[86:87], s[18:19], v[48:49]
	v_fmac_f64_e32 v[66:67], s[14:15], v[50:51]
	;; [unrolled: 1-line block ×3, first 2 shown]
	v_add_f64 v[50:51], v[44:45], v[68:69]
	v_add_f64 v[46:47], v[32:33], v[44:45]
	v_fmac_f64_e32 v[32:33], -0.5, v[50:51]
	v_fma_f64 v[58:59], s[16:17], v[48:49], v[32:33]
	v_add_f64 v[44:45], v[52:53], -v[44:45]
	v_add_f64 v[50:51], v[60:61], -v[68:69]
	v_fmac_f64_e32 v[32:33], s[6:7], v[48:49]
	v_fmac_f64_e32 v[58:59], s[0:1], v[38:39]
	v_add_f64 v[44:45], v[44:45], v[50:51]
	v_fmac_f64_e32 v[32:33], s[18:19], v[38:39]
	v_add_f64 v[46:47], v[46:47], v[52:53]
	v_fmac_f64_e32 v[58:59], s[14:15], v[44:45]
	v_fmac_f64_e32 v[32:33], s[14:15], v[44:45]
	v_add_f64 v[46:47], v[46:47], v[60:61]
	v_mul_f64 v[38:39], v[66:67], s[18:19]
	v_mul_f64 v[44:45], v[58:59], s[16:17]
	;; [unrolled: 1-line block ×8, first 2 shown]
	v_add_f64 v[46:47], v[46:47], v[68:69]
	v_fmac_f64_e32 v[38:39], s[20:21], v[54:55]
	v_fmac_f64_e32 v[44:45], s[14:15], v[62:63]
	;; [unrolled: 1-line block ×8, first 2 shown]
	v_add_f64 v[48:49], v[70:71], v[34:35]
	v_add_f64 v[52:53], v[76:77], v[38:39]
	;; [unrolled: 1-line block ×10, first 2 shown]
	v_add_f64 v[68:69], v[70:71], -v[34:35]
	v_add_f64 v[70:71], v[74:75], -v[46:47]
	;; [unrolled: 1-line block ×10, first 2 shown]
	s_barrier
	ds_write_b128 v201, v[48:51]
	ds_write_b128 v201, v[52:55] offset:640
	ds_write_b128 v201, v[56:59] offset:1280
	;; [unrolled: 1-line block ×9, first 2 shown]
	s_waitcnt lgkmcnt(0)
	s_barrier
	ds_read_b128 v[48:51], v192
	ds_read_b128 v[68:71], v192 offset:6400
	ds_read_b128 v[64:67], v192 offset:12800
	;; [unrolled: 1-line block ×5, first 2 shown]
	s_and_saveexec_b64 s[0:1], s[2:3]
	s_cbranch_execz .LBB0_19
; %bb.18:
	ds_read_b128 v[36:39], v192 offset:10240
	ds_read_b128 v[44:47], v192 offset:16640
	;; [unrolled: 1-line block ×6, first 2 shown]
.LBB0_19:
	s_or_b64 exec, exec, s[0:1]
	s_waitcnt lgkmcnt(4)
	v_mul_f64 v[72:73], v[126:127], v[70:71]
	v_fmac_f64_e32 v[72:73], v[124:125], v[68:69]
	v_mul_f64 v[68:69], v[126:127], v[68:69]
	v_fma_f64 v[68:69], v[124:125], v[70:71], -v[68:69]
	s_waitcnt lgkmcnt(3)
	v_mul_f64 v[70:71], v[138:139], v[66:67]
	v_fmac_f64_e32 v[70:71], v[136:137], v[64:65]
	v_mul_f64 v[64:65], v[138:139], v[64:65]
	v_fma_f64 v[64:65], v[136:137], v[66:67], -v[64:65]
	;; [unrolled: 5-line block ×5, first 2 shown]
	v_add_f64 v[54:55], v[48:49], v[70:71]
	v_add_f64 v[74:75], v[54:55], v[62:63]
	;; [unrolled: 1-line block ×3, first 2 shown]
	s_mov_b32 s0, 0xe8584caa
	v_fmac_f64_e32 v[48:49], -0.5, v[54:55]
	v_add_f64 v[54:55], v[64:65], -v[56:57]
	s_mov_b32 s1, 0xbfebb67a
	s_mov_b32 s7, 0x3febb67a
	;; [unrolled: 1-line block ×3, first 2 shown]
	v_fma_f64 v[76:77], s[0:1], v[54:55], v[48:49]
	v_fmac_f64_e32 v[48:49], s[6:7], v[54:55]
	v_add_f64 v[54:55], v[50:51], v[64:65]
	v_add_f64 v[78:79], v[54:55], v[56:57]
	v_add_f64 v[54:55], v[64:65], v[56:57]
	v_fmac_f64_e32 v[50:51], -0.5, v[54:55]
	v_add_f64 v[54:55], v[70:71], -v[62:63]
	v_fma_f64 v[70:71], s[6:7], v[54:55], v[50:51]
	v_fmac_f64_e32 v[50:51], s[0:1], v[54:55]
	v_add_f64 v[54:55], v[72:73], v[66:67]
	v_add_f64 v[64:65], v[54:55], v[58:59]
	v_add_f64 v[54:55], v[66:67], v[58:59]
	v_fmac_f64_e32 v[72:73], -0.5, v[54:55]
	v_add_f64 v[54:55], v[60:61], -v[52:53]
	;; [unrolled: 7-line block ×3, first 2 shown]
	v_fma_f64 v[58:59], s[6:7], v[52:53], v[68:69]
	v_fmac_f64_e32 v[68:69], s[0:1], v[52:53]
	v_mul_f64 v[66:67], v[58:59], s[0:1]
	v_mul_f64 v[82:83], v[68:69], s[0:1]
	v_mul_f64 v[84:85], v[58:59], 0.5
	v_mul_f64 v[86:87], v[68:69], -0.5
	v_add_f64 v[52:53], v[74:75], v[64:65]
	v_fmac_f64_e32 v[66:67], 0.5, v[62:63]
	v_fmac_f64_e32 v[82:83], -0.5, v[72:73]
	v_add_f64 v[54:55], v[78:79], v[80:81]
	v_fmac_f64_e32 v[84:85], s[6:7], v[62:63]
	v_fmac_f64_e32 v[86:87], s[6:7], v[72:73]
	v_add_f64 v[56:57], v[76:77], v[66:67]
	v_add_f64 v[60:61], v[48:49], v[82:83]
	;; [unrolled: 1-line block ×4, first 2 shown]
	v_add_f64 v[64:65], v[74:75], -v[64:65]
	v_add_f64 v[68:69], v[76:77], -v[66:67]
	;; [unrolled: 1-line block ×6, first 2 shown]
	ds_write_b128 v192, v[52:55]
	ds_write_b128 v192, v[56:59] offset:6400
	ds_write_b128 v192, v[60:63] offset:12800
	;; [unrolled: 1-line block ×5, first 2 shown]
	s_and_saveexec_b64 s[14:15], s[2:3]
	s_cbranch_execz .LBB0_21
; %bb.20:
	v_mul_f64 v[60:61], v[110:111], v[42:43]
	v_mul_f64 v[48:49], v[118:119], v[44:45]
	;; [unrolled: 1-line block ×3, first 2 shown]
	v_fmac_f64_e32 v[60:61], v[108:109], v[40:41]
	v_mul_f64 v[40:41], v[110:111], v[40:41]
	v_fma_f64 v[48:49], v[116:117], v[46:47], -v[48:49]
	v_fma_f64 v[50:51], v[112:113], v[150:151], -v[50:51]
	v_mul_f64 v[58:59], v[106:107], v[38:39]
	v_fma_f64 v[42:43], v[108:109], v[42:43], -v[40:41]
	v_mul_f64 v[40:41], v[122:123], v[144:145]
	v_add_f64 v[52:53], v[48:49], v[50:51]
	v_fmac_f64_e32 v[58:59], v[104:105], v[36:37]
	v_mul_f64 v[62:63], v[122:123], v[146:147]
	v_fma_f64 v[66:67], v[120:121], v[146:147], -v[40:41]
	v_mul_f64 v[36:37], v[106:107], v[36:37]
	v_fma_f64 v[52:53], -0.5, v[52:53], v[34:35]
	v_mul_f64 v[46:47], v[118:119], v[46:47]
	v_mul_f64 v[54:55], v[114:115], v[150:151]
	v_fmac_f64_e32 v[62:63], v[120:121], v[144:145]
	v_fma_f64 v[38:39], v[104:105], v[38:39], -v[36:37]
	v_add_f64 v[36:37], v[66:67], v[42:43]
	v_add_f64 v[34:35], v[48:49], v[34:35]
	v_fmac_f64_e32 v[46:47], v[116:117], v[44:45]
	v_fmac_f64_e32 v[54:55], v[112:113], v[148:149]
	v_add_f64 v[64:65], v[62:63], v[60:61]
	v_fma_f64 v[70:71], -0.5, v[36:37], v[38:39]
	v_add_f64 v[72:73], v[60:61], -v[62:63]
	v_add_f64 v[78:79], v[50:51], v[34:35]
	v_add_f64 v[34:35], v[38:39], v[42:43]
	v_fma_f64 v[64:65], -0.5, v[64:65], v[58:59]
	v_add_f64 v[40:41], v[42:43], -v[66:67]
	v_fma_f64 v[74:75], s[0:1], v[72:73], v[70:71]
	v_add_f64 v[66:67], v[66:67], v[34:35]
	v_add_f64 v[34:35], v[46:47], v[54:55]
	v_add_f64 v[44:45], v[46:47], -v[54:55]
	v_fma_f64 v[68:69], s[6:7], v[40:41], v[64:65]
	v_mul_f64 v[76:77], v[74:75], -0.5
	v_fmac_f64_e32 v[70:71], s[6:7], v[72:73]
	v_fma_f64 v[80:81], -0.5, v[34:35], v[32:33]
	v_mul_f64 v[74:75], v[74:75], s[0:1]
	v_add_f64 v[32:33], v[46:47], v[32:33]
	v_add_f64 v[42:43], v[58:59], v[60:61]
	v_fma_f64 v[56:57], s[0:1], v[44:45], v[52:53]
	v_fmac_f64_e32 v[76:77], s[6:7], v[68:69]
	v_fmac_f64_e32 v[64:65], s[0:1], v[40:41]
	v_mul_f64 v[72:73], v[70:71], 0.5
	v_add_f64 v[38:39], v[48:49], -v[50:51]
	v_fmac_f64_e32 v[74:75], -0.5, v[68:69]
	v_mul_f64 v[68:69], v[70:71], s[0:1]
	v_add_f64 v[32:33], v[54:55], v[32:33]
	v_add_f64 v[54:55], v[62:63], v[42:43]
	v_add_f64 v[36:37], v[56:57], -v[76:77]
	v_fmac_f64_e32 v[52:53], s[6:7], v[44:45]
	v_fmac_f64_e32 v[72:73], s[6:7], v[64:65]
	v_fma_f64 v[50:51], s[6:7], v[38:39], v[80:81]
	v_fmac_f64_e32 v[80:81], s[0:1], v[38:39]
	v_fmac_f64_e32 v[68:69], 0.5, v[64:65]
	v_add_f64 v[42:43], v[32:33], -v[54:55]
	v_add_f64 v[48:49], v[56:57], v[76:77]
	v_add_f64 v[56:57], v[78:79], v[66:67]
	v_add_f64 v[54:55], v[32:33], v[54:55]
	v_add_f64 v[40:41], v[52:53], -v[72:73]
	v_add_f64 v[44:45], v[78:79], -v[66:67]
	;; [unrolled: 1-line block ×4, first 2 shown]
	v_add_f64 v[52:53], v[52:53], v[72:73]
	v_add_f64 v[46:47], v[50:51], v[74:75]
	;; [unrolled: 1-line block ×3, first 2 shown]
	ds_write_b128 v192, v[54:57] offset:3840
	ds_write_b128 v192, v[50:53] offset:10240
	;; [unrolled: 1-line block ×6, first 2 shown]
.LBB0_21:
	s_or_b64 exec, exec, s[14:15]
	s_waitcnt lgkmcnt(0)
	s_barrier
	ds_read_b128 v[32:35], v192
	v_mad_u64_u32 v[46:47], s[0:1], s10, v198, 0
	v_mov_b32_e32 v36, v47
	v_mad_u64_u32 v[36:37], s[0:1], s11, v198, v[36:37]
	v_mov_b32_e32 v47, v36
	ds_read_b128 v[36:39], v192 offset:3840
	s_waitcnt lgkmcnt(1)
	v_mul_f64 v[40:41], v[2:3], v[34:35]
	s_mov_b32 s0, 0xb4e81b4f
	v_mul_f64 v[2:3], v[2:3], v[32:33]
	v_fmac_f64_e32 v[40:41], v[0:1], v[32:33]
	s_mov_b32 s1, 0x3f3b4e81
	v_fma_f64 v[0:1], v[0:1], v[34:35], -v[2:3]
	v_mad_u64_u32 v[32:33], s[2:3], s8, v196, 0
	v_mul_f64 v[42:43], v[0:1], s[0:1]
	v_mov_b32_e32 v0, v33
	v_mad_u64_u32 v[0:1], s[2:3], s9, v196, v[0:1]
	v_mov_b32_e32 v33, v0
	ds_read_b128 v[0:3], v192 offset:9600
	v_mov_b32_e32 v44, s12
	v_mov_b32_e32 v45, s13
	v_lshl_add_u64 v[34:35], v[46:47], 4, v[44:45]
	v_mul_f64 v[40:41], v[40:41], s[0:1]
	v_lshl_add_u64 v[44:45], v[32:33], 4, v[34:35]
	ds_read_b128 v[32:35], v192 offset:13440
	global_store_dwordx4 v[44:45], v[40:43], off
	s_mul_i32 s2, s9, 0x258
	s_mul_hi_u32 s3, s8, 0x258
	s_waitcnt lgkmcnt(1)
	v_mul_f64 v[40:41], v[6:7], v[2:3]
	v_fmac_f64_e32 v[40:41], v[4:5], v[0:1]
	v_mul_f64 v[0:1], v[6:7], v[0:1]
	v_fma_f64 v[0:1], v[4:5], v[2:3], -v[0:1]
	v_mul_f64 v[42:43], v[0:1], s[0:1]
	ds_read_b128 v[0:3], v192 offset:19200
	ds_read_b128 v[4:7], v192 offset:23040
	s_add_i32 s3, s3, s2
	s_mul_i32 s2, s8, 0x258
	s_lshl_b64 s[2:3], s[2:3], 4
	v_mul_f64 v[40:41], v[40:41], s[0:1]
	v_lshl_add_u64 v[44:45], v[44:45], 0, s[2:3]
	global_store_dwordx4 v[44:45], v[40:43], off
	v_lshl_add_u64 v[44:45], v[44:45], 0, s[2:3]
	s_mul_hi_u32 s7, s8, 0xfffff9e8
	s_waitcnt lgkmcnt(1)
	v_mul_f64 v[40:41], v[10:11], v[2:3]
	v_fmac_f64_e32 v[40:41], v[8:9], v[0:1]
	v_mul_f64 v[0:1], v[10:11], v[0:1]
	v_fma_f64 v[8:9], v[8:9], v[2:3], -v[0:1]
	ds_read_b128 v[0:3], v192 offset:28800
	v_mul_f64 v[40:41], v[40:41], s[0:1]
	v_mul_f64 v[42:43], v[8:9], s[0:1]
	ds_read_b128 v[8:11], v192 offset:32640
	global_store_dwordx4 v[44:45], v[40:43], off
	s_mul_i32 s6, s9, 0xfffff9e8
	s_sub_i32 s7, s7, s8
	s_waitcnt lgkmcnt(1)
	v_mul_f64 v[40:41], v[14:15], v[2:3]
	v_fmac_f64_e32 v[40:41], v[12:13], v[0:1]
	v_mul_f64 v[0:1], v[14:15], v[0:1]
	v_fma_f64 v[0:1], v[12:13], v[2:3], -v[0:1]
	v_mul_f64 v[42:43], v[0:1], s[0:1]
	v_mul_f64 v[0:1], v[18:19], v[38:39]
	;; [unrolled: 1-line block ×4, first 2 shown]
	v_lshl_add_u64 v[12:13], v[44:45], 0, s[2:3]
	v_fmac_f64_e32 v[0:1], v[16:17], v[36:37]
	v_fma_f64 v[2:3], v[16:17], v[38:39], -v[2:3]
	s_add_i32 s7, s7, s6
	s_mul_i32 s6, s8, 0xfffff9e8
	global_store_dwordx4 v[12:13], v[40:43], off
	v_mul_f64 v[0:1], v[0:1], s[0:1]
	v_mul_f64 v[2:3], v[2:3], s[0:1]
	v_lshl_add_u64 v[12:13], s[6:7], 4, v[12:13]
	global_store_dwordx4 v[12:13], v[0:3], off
	v_lshl_add_u64 v[12:13], v[12:13], 0, s[2:3]
	s_nop 0
	v_mul_f64 v[0:1], v[22:23], v[34:35]
	v_mul_f64 v[2:3], v[22:23], v[32:33]
	v_fmac_f64_e32 v[0:1], v[20:21], v[32:33]
	v_fma_f64 v[2:3], v[20:21], v[34:35], -v[2:3]
	v_mul_f64 v[0:1], v[0:1], s[0:1]
	v_mul_f64 v[2:3], v[2:3], s[0:1]
	global_store_dwordx4 v[12:13], v[0:3], off
	s_nop 1
	v_mul_f64 v[0:1], v[26:27], v[6:7]
	v_mul_f64 v[2:3], v[26:27], v[4:5]
	v_fmac_f64_e32 v[0:1], v[24:25], v[4:5]
	v_fma_f64 v[2:3], v[24:25], v[6:7], -v[2:3]
	v_mul_f64 v[0:1], v[0:1], s[0:1]
	v_mul_f64 v[2:3], v[2:3], s[0:1]
	v_lshl_add_u64 v[6:7], v[12:13], 0, s[2:3]
	global_store_dwordx4 v[6:7], v[0:3], off
	s_waitcnt lgkmcnt(0)
	s_nop 0
	v_mul_f64 v[0:1], v[30:31], v[10:11]
	v_fmac_f64_e32 v[0:1], v[28:29], v[8:9]
	v_mul_f64 v[2:3], v[0:1], s[0:1]
	v_mul_f64 v[0:1], v[30:31], v[8:9]
	v_fma_f64 v[0:1], v[28:29], v[10:11], -v[0:1]
	v_mul_f64 v[4:5], v[0:1], s[0:1]
	v_lshl_add_u64 v[0:1], v[6:7], 0, s[2:3]
	global_store_dwordx4 v[0:1], v[2:5], off
	s_and_b64 exec, exec, s[4:5]
	s_cbranch_execz .LBB0_23
; %bb.22:
	v_add_co_u32_e32 v10, vcc, 0x1000, v194
	s_movk_i32 s4, 0x4000
	s_nop 0
	v_addc_co_u32_e32 v11, vcc, 0, v195, vcc
	v_add_co_u32_e32 v12, vcc, s4, v194
	s_movk_i32 s4, 0x6000
	s_nop 0
	v_addc_co_u32_e32 v13, vcc, 0, v195, vcc
	global_load_dwordx4 v[2:5], v[10:11], off offset:3584
	global_load_dwordx4 v[6:9], v[12:13], off offset:896
	v_add_co_u32_e32 v10, vcc, s4, v194
	s_mov_b32 s4, 0x8000
	s_nop 0
	v_addc_co_u32_e32 v11, vcc, 0, v195, vcc
	v_add_co_u32_e32 v14, vcc, s4, v194
	global_load_dwordx4 v[10:13], v[10:11], off offset:2304
	s_nop 0
	v_addc_co_u32_e32 v15, vcc, 0, v195, vcc
	global_load_dwordx4 v[14:17], v[14:15], off offset:3712
	ds_read_b128 v[18:21], v192 offset:17280
	ds_read_b128 v[22:25], v192 offset:26880
	;; [unrolled: 1-line block ×4, first 2 shown]
	v_lshl_add_u64 v[34:35], s[6:7], 4, v[0:1]
	v_lshl_add_u64 v[36:37], v[34:35], 0, s[2:3]
	;; [unrolled: 1-line block ×4, first 2 shown]
	s_waitcnt vmcnt(3) lgkmcnt(1)
	v_mul_f64 v[0:1], v[28:29], v[4:5]
	v_mul_f64 v[4:5], v[26:27], v[4:5]
	s_waitcnt vmcnt(2)
	v_mul_f64 v[42:43], v[20:21], v[8:9]
	v_mul_f64 v[8:9], v[18:19], v[8:9]
	v_fmac_f64_e32 v[0:1], v[26:27], v[2:3]
	v_fma_f64 v[2:3], v[2:3], v[28:29], -v[4:5]
	v_fmac_f64_e32 v[42:43], v[18:19], v[6:7]
	v_fma_f64 v[6:7], v[6:7], v[20:21], -v[8:9]
	v_mul_f64 v[0:1], v[0:1], s[0:1]
	s_waitcnt vmcnt(1)
	v_mul_f64 v[44:45], v[24:25], v[12:13]
	v_mul_f64 v[12:13], v[22:23], v[12:13]
	v_fmac_f64_e32 v[44:45], v[22:23], v[10:11]
	s_waitcnt vmcnt(0) lgkmcnt(0)
	v_mul_f64 v[46:47], v[32:33], v[16:17]
	v_mul_f64 v[16:17], v[30:31], v[16:17]
	v_fma_f64 v[10:11], v[10:11], v[24:25], -v[12:13]
	v_fmac_f64_e32 v[46:47], v[30:31], v[14:15]
	v_fma_f64 v[14:15], v[14:15], v[32:33], -v[16:17]
	v_mul_f64 v[2:3], v[2:3], s[0:1]
	v_mul_f64 v[4:5], v[42:43], s[0:1]
	;; [unrolled: 1-line block ×7, first 2 shown]
	global_store_dwordx4 v[34:35], v[0:3], off
	global_store_dwordx4 v[36:37], v[4:7], off
	;; [unrolled: 1-line block ×4, first 2 shown]
.LBB0_23:
	s_endpgm
	.section	.rodata,"a",@progbits
	.p2align	6, 0x0
	.amdhsa_kernel bluestein_single_fwd_len2400_dim1_dp_op_CI_CI
		.amdhsa_group_segment_fixed_size 38400
		.amdhsa_private_segment_fixed_size 0
		.amdhsa_kernarg_size 104
		.amdhsa_user_sgpr_count 2
		.amdhsa_user_sgpr_dispatch_ptr 0
		.amdhsa_user_sgpr_queue_ptr 0
		.amdhsa_user_sgpr_kernarg_segment_ptr 1
		.amdhsa_user_sgpr_dispatch_id 0
		.amdhsa_user_sgpr_kernarg_preload_length 0
		.amdhsa_user_sgpr_kernarg_preload_offset 0
		.amdhsa_user_sgpr_private_segment_size 0
		.amdhsa_uses_dynamic_stack 0
		.amdhsa_enable_private_segment 0
		.amdhsa_system_sgpr_workgroup_id_x 1
		.amdhsa_system_sgpr_workgroup_id_y 0
		.amdhsa_system_sgpr_workgroup_id_z 0
		.amdhsa_system_sgpr_workgroup_info 0
		.amdhsa_system_vgpr_workitem_id 0
		.amdhsa_next_free_vgpr 250
		.amdhsa_next_free_sgpr 26
		.amdhsa_accum_offset 252
		.amdhsa_reserve_vcc 1
		.amdhsa_float_round_mode_32 0
		.amdhsa_float_round_mode_16_64 0
		.amdhsa_float_denorm_mode_32 3
		.amdhsa_float_denorm_mode_16_64 3
		.amdhsa_dx10_clamp 1
		.amdhsa_ieee_mode 1
		.amdhsa_fp16_overflow 0
		.amdhsa_tg_split 0
		.amdhsa_exception_fp_ieee_invalid_op 0
		.amdhsa_exception_fp_denorm_src 0
		.amdhsa_exception_fp_ieee_div_zero 0
		.amdhsa_exception_fp_ieee_overflow 0
		.amdhsa_exception_fp_ieee_underflow 0
		.amdhsa_exception_fp_ieee_inexact 0
		.amdhsa_exception_int_div_zero 0
	.end_amdhsa_kernel
	.text
.Lfunc_end0:
	.size	bluestein_single_fwd_len2400_dim1_dp_op_CI_CI, .Lfunc_end0-bluestein_single_fwd_len2400_dim1_dp_op_CI_CI
                                        ; -- End function
	.section	.AMDGPU.csdata,"",@progbits
; Kernel info:
; codeLenInByte = 13444
; NumSgprs: 32
; NumVgprs: 250
; NumAgprs: 0
; TotalNumVgprs: 250
; ScratchSize: 0
; MemoryBound: 0
; FloatMode: 240
; IeeeMode: 1
; LDSByteSize: 38400 bytes/workgroup (compile time only)
; SGPRBlocks: 3
; VGPRBlocks: 31
; NumSGPRsForWavesPerEU: 32
; NumVGPRsForWavesPerEU: 250
; AccumOffset: 252
; Occupancy: 2
; WaveLimiterHint : 1
; COMPUTE_PGM_RSRC2:SCRATCH_EN: 0
; COMPUTE_PGM_RSRC2:USER_SGPR: 2
; COMPUTE_PGM_RSRC2:TRAP_HANDLER: 0
; COMPUTE_PGM_RSRC2:TGID_X_EN: 1
; COMPUTE_PGM_RSRC2:TGID_Y_EN: 0
; COMPUTE_PGM_RSRC2:TGID_Z_EN: 0
; COMPUTE_PGM_RSRC2:TIDIG_COMP_CNT: 0
; COMPUTE_PGM_RSRC3_GFX90A:ACCUM_OFFSET: 62
; COMPUTE_PGM_RSRC3_GFX90A:TG_SPLIT: 0
	.text
	.p2alignl 6, 3212836864
	.fill 256, 4, 3212836864
	.type	__hip_cuid_8204ad2adae27562,@object ; @__hip_cuid_8204ad2adae27562
	.section	.bss,"aw",@nobits
	.globl	__hip_cuid_8204ad2adae27562
__hip_cuid_8204ad2adae27562:
	.byte	0                               ; 0x0
	.size	__hip_cuid_8204ad2adae27562, 1

	.ident	"AMD clang version 19.0.0git (https://github.com/RadeonOpenCompute/llvm-project roc-6.4.0 25133 c7fe45cf4b819c5991fe208aaa96edf142730f1d)"
	.section	".note.GNU-stack","",@progbits
	.addrsig
	.addrsig_sym __hip_cuid_8204ad2adae27562
	.amdgpu_metadata
---
amdhsa.kernels:
  - .agpr_count:     0
    .args:
      - .actual_access:  read_only
        .address_space:  global
        .offset:         0
        .size:           8
        .value_kind:     global_buffer
      - .actual_access:  read_only
        .address_space:  global
        .offset:         8
        .size:           8
        .value_kind:     global_buffer
      - .actual_access:  read_only
        .address_space:  global
        .offset:         16
        .size:           8
        .value_kind:     global_buffer
      - .actual_access:  read_only
        .address_space:  global
        .offset:         24
        .size:           8
        .value_kind:     global_buffer
      - .actual_access:  read_only
        .address_space:  global
        .offset:         32
        .size:           8
        .value_kind:     global_buffer
      - .offset:         40
        .size:           8
        .value_kind:     by_value
      - .address_space:  global
        .offset:         48
        .size:           8
        .value_kind:     global_buffer
      - .address_space:  global
        .offset:         56
        .size:           8
        .value_kind:     global_buffer
      - .address_space:  global
        .offset:         64
        .size:           8
        .value_kind:     global_buffer
      - .address_space:  global
        .offset:         72
        .size:           8
        .value_kind:     global_buffer
      - .offset:         80
        .size:           4
        .value_kind:     by_value
      - .address_space:  global
        .offset:         88
        .size:           8
        .value_kind:     global_buffer
      - .address_space:  global
        .offset:         96
        .size:           8
        .value_kind:     global_buffer
    .group_segment_fixed_size: 38400
    .kernarg_segment_align: 8
    .kernarg_segment_size: 104
    .language:       OpenCL C
    .language_version:
      - 2
      - 0
    .max_flat_workgroup_size: 240
    .name:           bluestein_single_fwd_len2400_dim1_dp_op_CI_CI
    .private_segment_fixed_size: 0
    .sgpr_count:     32
    .sgpr_spill_count: 0
    .symbol:         bluestein_single_fwd_len2400_dim1_dp_op_CI_CI.kd
    .uniform_work_group_size: 1
    .uses_dynamic_stack: false
    .vgpr_count:     250
    .vgpr_spill_count: 0
    .wavefront_size: 64
amdhsa.target:   amdgcn-amd-amdhsa--gfx950
amdhsa.version:
  - 1
  - 2
...

	.end_amdgpu_metadata
